;; amdgpu-corpus repo=ROCm/rocFFT kind=compiled arch=gfx906 opt=O3
	.text
	.amdgcn_target "amdgcn-amd-amdhsa--gfx906"
	.amdhsa_code_object_version 6
	.protected	fft_rtc_fwd_len1144_factors_13_11_8_wgs_104_tpt_104_dp_ip_CI_unitstride_sbrr_C2R_dirReg ; -- Begin function fft_rtc_fwd_len1144_factors_13_11_8_wgs_104_tpt_104_dp_ip_CI_unitstride_sbrr_C2R_dirReg
	.globl	fft_rtc_fwd_len1144_factors_13_11_8_wgs_104_tpt_104_dp_ip_CI_unitstride_sbrr_C2R_dirReg
	.p2align	8
	.type	fft_rtc_fwd_len1144_factors_13_11_8_wgs_104_tpt_104_dp_ip_CI_unitstride_sbrr_C2R_dirReg,@function
fft_rtc_fwd_len1144_factors_13_11_8_wgs_104_tpt_104_dp_ip_CI_unitstride_sbrr_C2R_dirReg: ; @fft_rtc_fwd_len1144_factors_13_11_8_wgs_104_tpt_104_dp_ip_CI_unitstride_sbrr_C2R_dirReg
; %bb.0:
	s_load_dwordx2 s[2:3], s[4:5], 0x50
	s_load_dwordx4 s[8:11], s[4:5], 0x0
	s_load_dwordx2 s[12:13], s[4:5], 0x18
	v_mul_u32_u24_e32 v1, 0x277, v0
	v_add_u32_sdwa v5, s6, v1 dst_sel:DWORD dst_unused:UNUSED_PAD src0_sel:DWORD src1_sel:WORD_1
	v_mov_b32_e32 v3, 0
	s_waitcnt lgkmcnt(0)
	v_cmp_lt_u64_e64 s[0:1], s[10:11], 2
	v_mov_b32_e32 v1, 0
	v_mov_b32_e32 v6, v3
	s_and_b64 vcc, exec, s[0:1]
	v_mov_b32_e32 v2, 0
	s_cbranch_vccnz .LBB0_8
; %bb.1:
	s_load_dwordx2 s[0:1], s[4:5], 0x10
	s_add_u32 s6, s12, 8
	s_addc_u32 s7, s13, 0
	v_mov_b32_e32 v1, 0
	v_mov_b32_e32 v2, 0
	s_waitcnt lgkmcnt(0)
	s_add_u32 s14, s0, 8
	s_addc_u32 s15, s1, 0
	s_mov_b64 s[16:17], 1
.LBB0_2:                                ; =>This Inner Loop Header: Depth=1
	s_load_dwordx2 s[18:19], s[14:15], 0x0
                                        ; implicit-def: $vgpr7_vgpr8
	s_waitcnt lgkmcnt(0)
	v_or_b32_e32 v4, s19, v6
	v_cmp_ne_u64_e32 vcc, 0, v[3:4]
	s_and_saveexec_b64 s[0:1], vcc
	s_xor_b64 s[20:21], exec, s[0:1]
	s_cbranch_execz .LBB0_4
; %bb.3:                                ;   in Loop: Header=BB0_2 Depth=1
	v_cvt_f32_u32_e32 v4, s18
	v_cvt_f32_u32_e32 v7, s19
	s_sub_u32 s0, 0, s18
	s_subb_u32 s1, 0, s19
	v_mac_f32_e32 v4, 0x4f800000, v7
	v_rcp_f32_e32 v4, v4
	v_mul_f32_e32 v4, 0x5f7ffffc, v4
	v_mul_f32_e32 v7, 0x2f800000, v4
	v_trunc_f32_e32 v7, v7
	v_mac_f32_e32 v4, 0xcf800000, v7
	v_cvt_u32_f32_e32 v7, v7
	v_cvt_u32_f32_e32 v4, v4
	v_mul_lo_u32 v8, s0, v7
	v_mul_hi_u32 v9, s0, v4
	v_mul_lo_u32 v11, s1, v4
	v_mul_lo_u32 v10, s0, v4
	v_add_u32_e32 v8, v9, v8
	v_add_u32_e32 v8, v8, v11
	v_mul_hi_u32 v9, v4, v10
	v_mul_lo_u32 v11, v4, v8
	v_mul_hi_u32 v13, v4, v8
	v_mul_hi_u32 v12, v7, v10
	v_mul_lo_u32 v10, v7, v10
	v_mul_hi_u32 v14, v7, v8
	v_add_co_u32_e32 v9, vcc, v9, v11
	v_addc_co_u32_e32 v11, vcc, 0, v13, vcc
	v_mul_lo_u32 v8, v7, v8
	v_add_co_u32_e32 v9, vcc, v9, v10
	v_addc_co_u32_e32 v9, vcc, v11, v12, vcc
	v_addc_co_u32_e32 v10, vcc, 0, v14, vcc
	v_add_co_u32_e32 v8, vcc, v9, v8
	v_addc_co_u32_e32 v9, vcc, 0, v10, vcc
	v_add_co_u32_e32 v4, vcc, v4, v8
	v_addc_co_u32_e32 v7, vcc, v7, v9, vcc
	v_mul_lo_u32 v8, s0, v7
	v_mul_hi_u32 v9, s0, v4
	v_mul_lo_u32 v10, s1, v4
	v_mul_lo_u32 v11, s0, v4
	v_add_u32_e32 v8, v9, v8
	v_add_u32_e32 v8, v8, v10
	v_mul_lo_u32 v12, v4, v8
	v_mul_hi_u32 v13, v4, v11
	v_mul_hi_u32 v14, v4, v8
	;; [unrolled: 1-line block ×3, first 2 shown]
	v_mul_lo_u32 v11, v7, v11
	v_mul_hi_u32 v9, v7, v8
	v_add_co_u32_e32 v12, vcc, v13, v12
	v_addc_co_u32_e32 v13, vcc, 0, v14, vcc
	v_mul_lo_u32 v8, v7, v8
	v_add_co_u32_e32 v11, vcc, v12, v11
	v_addc_co_u32_e32 v10, vcc, v13, v10, vcc
	v_addc_co_u32_e32 v9, vcc, 0, v9, vcc
	v_add_co_u32_e32 v8, vcc, v10, v8
	v_addc_co_u32_e32 v9, vcc, 0, v9, vcc
	v_add_co_u32_e32 v4, vcc, v4, v8
	v_addc_co_u32_e32 v9, vcc, v7, v9, vcc
	v_mad_u64_u32 v[7:8], s[0:1], v5, v9, 0
	v_mul_hi_u32 v10, v5, v4
	v_add_co_u32_e32 v11, vcc, v10, v7
	v_addc_co_u32_e32 v12, vcc, 0, v8, vcc
	v_mad_u64_u32 v[7:8], s[0:1], v6, v4, 0
	v_mad_u64_u32 v[9:10], s[0:1], v6, v9, 0
	v_add_co_u32_e32 v4, vcc, v11, v7
	v_addc_co_u32_e32 v4, vcc, v12, v8, vcc
	v_addc_co_u32_e32 v7, vcc, 0, v10, vcc
	v_add_co_u32_e32 v4, vcc, v4, v9
	v_addc_co_u32_e32 v9, vcc, 0, v7, vcc
	v_mul_lo_u32 v10, s19, v4
	v_mul_lo_u32 v11, s18, v9
	v_mad_u64_u32 v[7:8], s[0:1], s18, v4, 0
	v_add3_u32 v8, v8, v11, v10
	v_sub_u32_e32 v10, v6, v8
	v_mov_b32_e32 v11, s19
	v_sub_co_u32_e32 v7, vcc, v5, v7
	v_subb_co_u32_e64 v10, s[0:1], v10, v11, vcc
	v_subrev_co_u32_e64 v11, s[0:1], s18, v7
	v_subbrev_co_u32_e64 v10, s[0:1], 0, v10, s[0:1]
	v_cmp_le_u32_e64 s[0:1], s19, v10
	v_cndmask_b32_e64 v12, 0, -1, s[0:1]
	v_cmp_le_u32_e64 s[0:1], s18, v11
	v_cndmask_b32_e64 v11, 0, -1, s[0:1]
	v_cmp_eq_u32_e64 s[0:1], s19, v10
	v_cndmask_b32_e64 v10, v12, v11, s[0:1]
	v_add_co_u32_e64 v11, s[0:1], 2, v4
	v_addc_co_u32_e64 v12, s[0:1], 0, v9, s[0:1]
	v_add_co_u32_e64 v13, s[0:1], 1, v4
	v_addc_co_u32_e64 v14, s[0:1], 0, v9, s[0:1]
	v_subb_co_u32_e32 v8, vcc, v6, v8, vcc
	v_cmp_ne_u32_e64 s[0:1], 0, v10
	v_cmp_le_u32_e32 vcc, s19, v8
	v_cndmask_b32_e64 v10, v14, v12, s[0:1]
	v_cndmask_b32_e64 v12, 0, -1, vcc
	v_cmp_le_u32_e32 vcc, s18, v7
	v_cndmask_b32_e64 v7, 0, -1, vcc
	v_cmp_eq_u32_e32 vcc, s19, v8
	v_cndmask_b32_e32 v7, v12, v7, vcc
	v_cmp_ne_u32_e32 vcc, 0, v7
	v_cndmask_b32_e64 v7, v13, v11, s[0:1]
	v_cndmask_b32_e32 v8, v9, v10, vcc
	v_cndmask_b32_e32 v7, v4, v7, vcc
.LBB0_4:                                ;   in Loop: Header=BB0_2 Depth=1
	s_andn2_saveexec_b64 s[0:1], s[20:21]
	s_cbranch_execz .LBB0_6
; %bb.5:                                ;   in Loop: Header=BB0_2 Depth=1
	v_cvt_f32_u32_e32 v4, s18
	s_sub_i32 s20, 0, s18
	v_rcp_iflag_f32_e32 v4, v4
	v_mul_f32_e32 v4, 0x4f7ffffe, v4
	v_cvt_u32_f32_e32 v4, v4
	v_mul_lo_u32 v7, s20, v4
	v_mul_hi_u32 v7, v4, v7
	v_add_u32_e32 v4, v4, v7
	v_mul_hi_u32 v4, v5, v4
	v_mul_lo_u32 v7, v4, s18
	v_add_u32_e32 v8, 1, v4
	v_sub_u32_e32 v7, v5, v7
	v_subrev_u32_e32 v9, s18, v7
	v_cmp_le_u32_e32 vcc, s18, v7
	v_cndmask_b32_e32 v7, v7, v9, vcc
	v_cndmask_b32_e32 v4, v4, v8, vcc
	v_add_u32_e32 v8, 1, v4
	v_cmp_le_u32_e32 vcc, s18, v7
	v_cndmask_b32_e32 v7, v4, v8, vcc
	v_mov_b32_e32 v8, v3
.LBB0_6:                                ;   in Loop: Header=BB0_2 Depth=1
	s_or_b64 exec, exec, s[0:1]
	v_mul_lo_u32 v4, v8, s18
	v_mul_lo_u32 v11, v7, s19
	v_mad_u64_u32 v[9:10], s[0:1], v7, s18, 0
	s_load_dwordx2 s[0:1], s[6:7], 0x0
	s_add_u32 s16, s16, 1
	v_add3_u32 v4, v10, v11, v4
	v_sub_co_u32_e32 v5, vcc, v5, v9
	v_subb_co_u32_e32 v4, vcc, v6, v4, vcc
	s_waitcnt lgkmcnt(0)
	v_mul_lo_u32 v4, s0, v4
	v_mul_lo_u32 v6, s1, v5
	v_mad_u64_u32 v[1:2], s[0:1], s0, v5, v[1:2]
	s_addc_u32 s17, s17, 0
	s_add_u32 s6, s6, 8
	v_add3_u32 v2, v6, v2, v4
	v_mov_b32_e32 v4, s10
	v_mov_b32_e32 v5, s11
	s_addc_u32 s7, s7, 0
	v_cmp_ge_u64_e32 vcc, s[16:17], v[4:5]
	s_add_u32 s14, s14, 8
	s_addc_u32 s15, s15, 0
	s_cbranch_vccnz .LBB0_9
; %bb.7:                                ;   in Loop: Header=BB0_2 Depth=1
	v_mov_b32_e32 v5, v7
	v_mov_b32_e32 v6, v8
	s_branch .LBB0_2
.LBB0_8:
	v_mov_b32_e32 v8, v6
	v_mov_b32_e32 v7, v5
.LBB0_9:
	s_lshl_b64 s[0:1], s[10:11], 3
	s_add_u32 s0, s12, s0
	s_addc_u32 s1, s13, s1
	s_load_dwordx2 s[6:7], s[0:1], 0x0
	s_load_dwordx2 s[10:11], s[4:5], 0x20
	s_waitcnt lgkmcnt(0)
	v_mad_u64_u32 v[1:2], s[0:1], s6, v7, v[1:2]
	v_mul_lo_u32 v3, s6, v8
	v_mul_lo_u32 v4, s7, v7
	s_mov_b32 s0, 0x2762763
	v_mul_hi_u32 v5, v0, s0
	v_cmp_gt_u64_e64 s[0:1], s[10:11], v[7:8]
	v_add3_u32 v2, v4, v2, v3
	v_lshlrev_b64 v[70:71], 4, v[1:2]
	v_mul_u32_u24_e32 v3, 0x68, v5
	v_sub_u32_e32 v68, v0, v3
	s_and_saveexec_b64 s[4:5], s[0:1]
	s_cbranch_execz .LBB0_13
; %bb.10:
	v_mov_b32_e32 v69, 0
	v_mov_b32_e32 v0, s3
	v_add_co_u32_e32 v1, vcc, s2, v70
	v_lshlrev_b64 v[2:3], 4, v[68:69]
	v_addc_co_u32_e32 v0, vcc, v0, v71, vcc
	v_add_co_u32_e32 v41, vcc, v1, v2
	v_addc_co_u32_e32 v42, vcc, v0, v3, vcc
	s_movk_i32 s6, 0x1000
	v_add_co_u32_e32 v26, vcc, s6, v41
	v_addc_co_u32_e32 v27, vcc, 0, v42, vcc
	s_movk_i32 s6, 0x2000
	;; [unrolled: 3-line block ×3, first 2 shown]
	v_add_co_u32_e32 v43, vcc, s6, v41
	v_addc_co_u32_e32 v44, vcc, 0, v42, vcc
	global_load_dwordx4 v[2:5], v[41:42], off
	global_load_dwordx4 v[6:9], v[41:42], off offset:1664
	global_load_dwordx4 v[10:13], v[41:42], off offset:3328
	;; [unrolled: 1-line block ×5, first 2 shown]
	s_nop 0
	global_load_dwordx4 v[26:29], v[34:35], off offset:1792
	global_load_dwordx4 v[30:33], v[34:35], off offset:3456
	v_add_co_u32_e32 v45, vcc, 0x4000, v41
	global_load_dwordx4 v[34:37], v[43:44], off offset:1024
	global_load_dwordx4 v[38:41], v[43:44], off offset:2688
	v_addc_co_u32_e32 v46, vcc, 0, v42, vcc
	global_load_dwordx4 v[42:45], v[45:46], off offset:256
	s_movk_i32 s6, 0x67
	v_lshl_add_u32 v46, v68, 4, 0
	v_cmp_eq_u32_e32 vcc, s6, v68
	s_waitcnt vmcnt(10)
	ds_write_b128 v46, v[2:5]
	s_waitcnt vmcnt(9)
	ds_write_b128 v46, v[6:9] offset:1664
	s_waitcnt vmcnt(8)
	ds_write_b128 v46, v[10:13] offset:3328
	;; [unrolled: 2-line block ×10, first 2 shown]
	s_and_saveexec_b64 s[6:7], vcc
	s_cbranch_execz .LBB0_12
; %bb.11:
	v_add_co_u32_e32 v1, vcc, 0x4000, v1
	v_addc_co_u32_e32 v2, vcc, 0, v0, vcc
	global_load_dwordx4 v[0:3], v[1:2], off offset:1920
	v_mov_b32_e32 v68, 0x67
	s_waitcnt vmcnt(0)
	ds_write_b128 v69, v[0:3] offset:18304
.LBB0_12:
	s_or_b64 exec, exec, s[6:7]
.LBB0_13:
	s_or_b64 exec, exec, s[4:5]
	v_lshlrev_b32_e32 v0, 4, v68
	v_add_u32_e32 v208, 0, v0
	s_waitcnt lgkmcnt(0)
	s_barrier
	v_sub_u32_e32 v6, 0, v0
	ds_read_b64 v[2:3], v208
	ds_read_b64 v[4:5], v6 offset:18304
	s_add_u32 s6, s8, 0x46b0
	s_addc_u32 s7, s9, 0
	v_cmp_ne_u32_e32 vcc, 0, v68
	s_waitcnt lgkmcnt(0)
	v_add_f64 v[0:1], v[2:3], v[4:5]
	v_add_f64 v[2:3], v[2:3], -v[4:5]
                                        ; implicit-def: $vgpr4_vgpr5
	s_and_saveexec_b64 s[4:5], vcc
	s_xor_b64 s[4:5], exec, s[4:5]
	s_cbranch_execz .LBB0_15
; %bb.14:
	v_mov_b32_e32 v69, 0
	v_lshlrev_b64 v[4:5], 4, v[68:69]
	v_mov_b32_e32 v7, s7
	v_add_co_u32_e32 v4, vcc, s6, v4
	v_addc_co_u32_e32 v5, vcc, v7, v5, vcc
	global_load_dwordx4 v[7:10], v[4:5], off
	ds_read_b64 v[4:5], v6 offset:18312
	ds_read_b64 v[11:12], v208 offset:8
	s_waitcnt lgkmcnt(0)
	v_add_f64 v[13:14], v[4:5], v[11:12]
	v_add_f64 v[4:5], v[11:12], -v[4:5]
	s_waitcnt vmcnt(0)
	v_fma_f64 v[11:12], v[2:3], v[9:10], v[0:1]
	v_fma_f64 v[15:16], v[13:14], v[9:10], v[4:5]
	v_fma_f64 v[0:1], -v[2:3], v[9:10], v[0:1]
	v_fma_f64 v[4:5], v[13:14], v[9:10], -v[4:5]
	v_fma_f64 v[9:10], -v[13:14], v[7:8], v[11:12]
	v_fma_f64 v[11:12], v[2:3], v[7:8], v[15:16]
	v_fma_f64 v[0:1], v[13:14], v[7:8], v[0:1]
	;; [unrolled: 1-line block ×3, first 2 shown]
	v_mov_b32_e32 v4, v68
	v_mov_b32_e32 v5, v69
	ds_write_b128 v208, v[9:12]
	ds_write_b128 v6, v[0:3] offset:18304
                                        ; implicit-def: $vgpr0_vgpr1
.LBB0_15:
	s_andn2_saveexec_b64 s[4:5], s[4:5]
	s_cbranch_execz .LBB0_17
; %bb.16:
	ds_write_b128 v208, v[0:3]
	v_mov_b32_e32 v7, 0
	ds_read_b128 v[0:3], v7 offset:9152
	v_mov_b32_e32 v4, 0
	v_mov_b32_e32 v5, 0
	s_waitcnt lgkmcnt(0)
	v_add_f64 v[0:1], v[0:1], v[0:1]
	v_mul_f64 v[2:3], v[2:3], -2.0
	ds_write_b128 v7, v[0:3] offset:9152
.LBB0_17:
	s_or_b64 exec, exec, s[4:5]
	v_lshlrev_b64 v[0:1], 4, v[4:5]
	v_mov_b32_e32 v2, s7
	v_add_co_u32_e32 v0, vcc, s6, v0
	v_addc_co_u32_e32 v1, vcc, v2, v1, vcc
	global_load_dwordx4 v[2:5], v[0:1], off offset:1664
	global_load_dwordx4 v[7:10], v[0:1], off offset:3328
	s_movk_i32 s4, 0x1000
	v_add_co_u32_e32 v23, vcc, s4, v0
	v_addc_co_u32_e32 v24, vcc, 0, v1, vcc
	ds_read_b128 v[11:14], v208 offset:1664
	ds_read_b128 v[15:18], v6 offset:16640
	global_load_dwordx4 v[19:22], v[23:24], off offset:896
	v_cmp_gt_u32_e32 vcc, 52, v68
	s_waitcnt lgkmcnt(0)
	v_add_f64 v[25:26], v[11:12], v[15:16]
	v_add_f64 v[27:28], v[17:18], v[13:14]
	v_add_f64 v[29:30], v[11:12], -v[15:16]
	v_add_f64 v[11:12], v[13:14], -v[17:18]
	s_waitcnt vmcnt(2)
	v_fma_f64 v[13:14], v[29:30], v[4:5], v[25:26]
	v_fma_f64 v[15:16], v[27:28], v[4:5], v[11:12]
	v_fma_f64 v[17:18], -v[29:30], v[4:5], v[25:26]
	v_fma_f64 v[4:5], v[27:28], v[4:5], -v[11:12]
	v_fma_f64 v[11:12], -v[27:28], v[2:3], v[13:14]
	v_fma_f64 v[13:14], v[29:30], v[2:3], v[15:16]
	v_fma_f64 v[15:16], v[27:28], v[2:3], v[17:18]
	;; [unrolled: 1-line block ×3, first 2 shown]
	ds_write_b128 v208, v[11:14] offset:1664
	ds_write_b128 v6, v[15:18] offset:16640
	ds_read_b128 v[2:5], v208 offset:3328
	ds_read_b128 v[11:14], v6 offset:14976
	global_load_dwordx4 v[15:18], v[23:24], off offset:2560
	s_waitcnt lgkmcnt(0)
	v_add_f64 v[23:24], v[2:3], v[11:12]
	v_add_f64 v[25:26], v[13:14], v[4:5]
	v_add_f64 v[11:12], v[2:3], -v[11:12]
	v_add_f64 v[2:3], v[4:5], -v[13:14]
	s_waitcnt vmcnt(2)
	v_fma_f64 v[4:5], v[11:12], v[9:10], v[23:24]
	v_fma_f64 v[13:14], v[25:26], v[9:10], v[2:3]
	v_fma_f64 v[23:24], -v[11:12], v[9:10], v[23:24]
	v_fma_f64 v[27:28], v[25:26], v[9:10], -v[2:3]
	v_fma_f64 v[2:3], -v[25:26], v[7:8], v[4:5]
	v_fma_f64 v[4:5], v[11:12], v[7:8], v[13:14]
	v_fma_f64 v[9:10], v[25:26], v[7:8], v[23:24]
	;; [unrolled: 1-line block ×3, first 2 shown]
	ds_write_b128 v208, v[2:5] offset:3328
	ds_write_b128 v6, v[9:12] offset:14976
	ds_read_b128 v[2:5], v208 offset:4992
	ds_read_b128 v[7:10], v6 offset:13312
	s_waitcnt lgkmcnt(0)
	v_add_f64 v[11:12], v[2:3], v[7:8]
	v_add_f64 v[13:14], v[9:10], v[4:5]
	v_add_f64 v[23:24], v[2:3], -v[7:8]
	v_add_f64 v[2:3], v[4:5], -v[9:10]
	s_waitcnt vmcnt(1)
	v_fma_f64 v[4:5], v[23:24], v[21:22], v[11:12]
	v_fma_f64 v[7:8], v[13:14], v[21:22], v[2:3]
	v_fma_f64 v[9:10], -v[23:24], v[21:22], v[11:12]
	v_fma_f64 v[11:12], v[13:14], v[21:22], -v[2:3]
	v_fma_f64 v[2:3], -v[13:14], v[19:20], v[4:5]
	v_fma_f64 v[4:5], v[23:24], v[19:20], v[7:8]
	v_fma_f64 v[7:8], v[13:14], v[19:20], v[9:10]
	;; [unrolled: 1-line block ×3, first 2 shown]
	ds_write_b128 v208, v[2:5] offset:4992
	ds_write_b128 v6, v[7:10] offset:13312
	ds_read_b128 v[2:5], v208 offset:6656
	ds_read_b128 v[7:10], v6 offset:11648
	s_waitcnt lgkmcnt(0)
	v_add_f64 v[11:12], v[2:3], v[7:8]
	v_add_f64 v[13:14], v[9:10], v[4:5]
	v_add_f64 v[19:20], v[2:3], -v[7:8]
	v_add_f64 v[2:3], v[4:5], -v[9:10]
	s_waitcnt vmcnt(0)
	v_fma_f64 v[4:5], v[19:20], v[17:18], v[11:12]
	v_fma_f64 v[7:8], v[13:14], v[17:18], v[2:3]
	v_fma_f64 v[9:10], -v[19:20], v[17:18], v[11:12]
	v_fma_f64 v[11:12], v[13:14], v[17:18], -v[2:3]
	v_fma_f64 v[2:3], -v[13:14], v[15:16], v[4:5]
	v_fma_f64 v[4:5], v[19:20], v[15:16], v[7:8]
	v_fma_f64 v[7:8], v[13:14], v[15:16], v[9:10]
	;; [unrolled: 1-line block ×3, first 2 shown]
	ds_write_b128 v208, v[2:5] offset:6656
	ds_write_b128 v6, v[7:10] offset:11648
	s_and_saveexec_b64 s[4:5], vcc
	s_cbranch_execz .LBB0_19
; %bb.18:
	s_movk_i32 s6, 0x2000
	v_add_co_u32_e32 v0, vcc, s6, v0
	v_addc_co_u32_e32 v1, vcc, 0, v1, vcc
	global_load_dwordx4 v[0:3], v[0:1], off offset:128
	ds_read_b128 v[7:10], v208 offset:8320
	ds_read_b128 v[11:14], v6 offset:9984
	s_waitcnt lgkmcnt(0)
	v_add_f64 v[4:5], v[7:8], v[11:12]
	v_add_f64 v[15:16], v[13:14], v[9:10]
	v_add_f64 v[11:12], v[7:8], -v[11:12]
	v_add_f64 v[7:8], v[9:10], -v[13:14]
	s_waitcnt vmcnt(0)
	v_fma_f64 v[9:10], v[11:12], v[2:3], v[4:5]
	v_fma_f64 v[13:14], v[15:16], v[2:3], v[7:8]
	v_fma_f64 v[17:18], -v[11:12], v[2:3], v[4:5]
	v_fma_f64 v[19:20], v[15:16], v[2:3], -v[7:8]
	v_fma_f64 v[2:3], -v[15:16], v[0:1], v[9:10]
	v_fma_f64 v[4:5], v[11:12], v[0:1], v[13:14]
	v_fma_f64 v[7:8], v[15:16], v[0:1], v[17:18]
	;; [unrolled: 1-line block ×3, first 2 shown]
	ds_write_b128 v208, v[2:5] offset:8320
	ds_write_b128 v6, v[7:10] offset:9984
.LBB0_19:
	s_or_b64 exec, exec, s[4:5]
	s_waitcnt lgkmcnt(0)
	s_barrier
	s_barrier
	ds_read_b128 v[8:11], v208 offset:16896
	ds_read_b128 v[16:19], v208 offset:1408
	ds_read_b128 v[20:23], v208
	ds_read_b128 v[12:15], v208 offset:15488
	ds_read_b128 v[28:31], v208 offset:2816
	s_mov_b32 s14, 0x4267c47c
	s_mov_b32 s15, 0xbfddbe06
	s_waitcnt lgkmcnt(3)
	v_add_f64 v[98:99], v[18:19], -v[10:11]
	v_add_f64 v[74:75], v[16:17], v[8:9]
	s_waitcnt lgkmcnt(0)
	v_add_f64 v[114:115], v[30:31], -v[14:15]
	v_add_f64 v[100:101], v[16:17], -v[8:9]
	s_mov_b32 s4, 0xe00740e9
	s_mov_b32 s10, 0x42a4c3d2
	;; [unrolled: 1-line block ×4, first 2 shown]
	v_mul_f64 v[72:73], v[98:99], s[14:15]
	v_add_f64 v[84:85], v[28:29], v[12:13]
	v_mul_f64 v[76:77], v[114:115], s[10:11]
	v_add_f64 v[134:135], v[18:19], v[10:11]
	v_mul_f64 v[78:79], v[100:101], s[14:15]
	v_add_f64 v[102:103], v[28:29], -v[12:13]
	ds_read_b128 v[32:35], v208 offset:4224
	ds_read_b128 v[24:27], v208 offset:14080
	s_mov_b32 s6, 0x1ea71119
	v_fma_f64 v[0:1], v[74:75], s[4:5], v[72:73]
	s_mov_b32 s7, 0x3fe22d96
	v_fma_f64 v[2:3], v[84:85], s[6:7], v[76:77]
	s_waitcnt lgkmcnt(0)
	v_add_f64 v[116:117], v[34:35], -v[26:27]
	v_fma_f64 v[4:5], v[134:135], s[4:5], -v[78:79]
	v_add_f64 v[136:137], v[30:31], v[14:15]
	v_mul_f64 v[80:81], v[102:103], s[10:11]
	v_add_f64 v[90:91], v[32:33], -v[24:25]
	v_add_f64 v[0:1], v[20:21], v[0:1]
	ds_read_b128 v[36:39], v208 offset:12672
	ds_read_b128 v[40:43], v208 offset:5632
	s_mov_b32 s22, 0x66966769
	s_mov_b32 s23, 0xbfefc445
	v_add_f64 v[88:89], v[32:33], v[24:25]
	v_mul_f64 v[82:83], v[116:117], s[22:23]
	v_add_f64 v[138:139], v[34:35], v[26:27]
	v_add_f64 v[0:1], v[2:3], v[0:1]
	;; [unrolled: 1-line block ×3, first 2 shown]
	v_fma_f64 v[4:5], v[136:137], s[6:7], -v[80:81]
	v_mul_f64 v[86:87], v[90:91], s[22:23]
	s_waitcnt lgkmcnt(0)
	v_add_f64 v[186:187], v[42:43], -v[38:39]
	v_add_f64 v[104:105], v[40:41], -v[36:37]
	s_mov_b32 s12, 0xebaa3ed8
	s_mov_b32 s34, 0x2ef20147
	;; [unrolled: 1-line block ×4, first 2 shown]
	v_fma_f64 v[6:7], v[88:89], s[12:13], v[82:83]
	v_add_f64 v[2:3], v[4:5], v[2:3]
	v_fma_f64 v[4:5], v[138:139], s[12:13], -v[86:87]
	v_add_f64 v[96:97], v[40:41], v[36:37]
	v_mul_f64 v[92:93], v[186:187], s[34:35]
	v_add_f64 v[192:193], v[42:43], v[38:39]
	v_mul_f64 v[94:95], v[104:105], s[34:35]
	s_mov_b32 s18, 0xb2365da1
	s_mov_b32 s19, 0xbfd6b1d8
	v_add_f64 v[0:1], v[6:7], v[0:1]
	v_add_f64 v[2:3], v[4:5], v[2:3]
	v_mul_f64 v[112:113], v[98:99], s[10:11]
	v_fma_f64 v[4:5], v[96:97], s[18:19], v[92:93]
	v_mul_f64 v[190:191], v[100:101], s[10:11]
	v_fma_f64 v[6:7], v[192:193], s[18:19], -v[94:95]
	v_mul_f64 v[120:121], v[114:115], s[34:35]
	v_mul_f64 v[140:141], v[102:103], s[34:35]
	s_mov_b32 s36, 0x4bc48dbf
	s_mov_b32 s37, 0xbfcea1e5
	v_mul_f64 v[122:123], v[116:117], s[36:37]
	v_add_f64 v[0:1], v[4:5], v[0:1]
	v_fma_f64 v[4:5], v[74:75], s[6:7], v[112:113]
	v_add_f64 v[2:3], v[6:7], v[2:3]
	v_fma_f64 v[6:7], v[134:135], s[6:7], -v[190:191]
	v_fma_f64 v[60:61], v[84:85], s[18:19], v[120:121]
	v_fma_f64 v[62:63], v[136:137], s[18:19], -v[140:141]
	v_mul_f64 v[142:143], v[90:91], s[36:37]
	ds_read_b128 v[44:47], v208 offset:7040
	ds_read_b128 v[48:51], v208 offset:11264
	s_mov_b32 s30, 0x24c2f84
	v_add_f64 v[4:5], v[20:21], v[4:5]
	s_mov_b32 s26, 0x93053d00
	v_add_f64 v[6:7], v[22:23], v[6:7]
	s_mov_b32 s31, 0x3fe5384d
	s_mov_b32 s27, 0xbfef11f4
	s_waitcnt lgkmcnt(0)
	v_add_f64 v[188:189], v[46:47], -v[50:51]
	v_add_f64 v[108:109], v[44:45], -v[48:49]
	v_mul_f64 v[124:125], v[186:187], s[30:31]
	v_add_f64 v[4:5], v[60:61], v[4:5]
	v_fma_f64 v[60:61], v[88:89], s[26:27], v[122:123]
	v_add_f64 v[6:7], v[62:63], v[6:7]
	v_fma_f64 v[62:63], v[138:139], s[26:27], -v[142:143]
	v_mul_f64 v[144:145], v[104:105], s[30:31]
	ds_read_b128 v[56:59], v208 offset:8448
	ds_read_b128 v[52:55], v208 offset:9856
	s_mov_b32 s24, 0xd0032e0c
	s_mov_b32 s21, 0xbfe5384d
	s_mov_b32 s20, s30
	s_mov_b32 s25, 0xbfe7f3cc
	s_mov_b32 s41, 0x3fefc445
	s_mov_b32 s40, s22
	v_add_f64 v[118:119], v[44:45], v[48:49]
	v_mul_f64 v[106:107], v[188:189], s[20:21]
	v_add_f64 v[202:203], v[46:47], v[50:51]
	v_mul_f64 v[110:111], v[108:109], s[20:21]
	s_waitcnt lgkmcnt(0)
	v_add_f64 v[204:205], v[58:59], -v[54:55]
	v_add_f64 v[146:147], v[56:57], -v[52:53]
	v_add_f64 v[4:5], v[60:61], v[4:5]
	v_add_f64 v[6:7], v[62:63], v[6:7]
	v_fma_f64 v[60:61], v[96:97], s[24:25], v[124:125]
	v_fma_f64 v[62:63], v[192:193], s[24:25], -v[144:145]
	v_mul_f64 v[130:131], v[188:189], s[40:41]
	v_mul_f64 v[150:151], v[108:109], s[40:41]
	s_mov_b32 s29, 0x3fddbe06
	s_mov_b32 s28, s14
	v_fma_f64 v[64:65], v[118:119], s[24:25], v[106:107]
	v_fma_f64 v[66:67], v[202:203], s[24:25], -v[110:111]
	v_add_f64 v[148:149], v[56:57], v[52:53]
	v_mul_f64 v[126:127], v[204:205], s[36:37]
	v_add_f64 v[206:207], v[58:59], v[54:55]
	v_mul_f64 v[128:129], v[146:147], s[36:37]
	v_add_f64 v[4:5], v[60:61], v[4:5]
	v_add_f64 v[6:7], v[62:63], v[6:7]
	v_fma_f64 v[60:61], v[118:119], s[12:13], v[130:131]
	v_fma_f64 v[62:63], v[202:203], s[12:13], -v[150:151]
	v_mul_f64 v[132:133], v[204:205], s[28:29]
	v_mul_f64 v[152:153], v[146:147], s[28:29]
	v_add_f64 v[0:1], v[64:65], v[0:1]
	v_add_f64 v[2:3], v[66:67], v[2:3]
	v_fma_f64 v[64:65], v[148:149], s[26:27], v[126:127]
	v_fma_f64 v[66:67], v[206:207], s[26:27], -v[128:129]
	v_add_f64 v[60:61], v[60:61], v[4:5]
	v_add_f64 v[62:63], v[62:63], v[6:7]
	v_fma_f64 v[154:155], v[148:149], s[4:5], v[132:133]
	v_fma_f64 v[156:157], v[206:207], s[4:5], -v[152:153]
	s_movk_i32 s16, 0x58
	v_cmp_gt_u32_e32 vcc, s16, v68
	v_add_f64 v[4:5], v[64:65], v[0:1]
	v_add_f64 v[6:7], v[66:67], v[2:3]
	s_barrier
	v_add_f64 v[0:1], v[154:155], v[60:61]
	v_add_f64 v[2:3], v[156:157], v[62:63]
	s_and_saveexec_b64 s[16:17], vcc
	s_cbranch_execz .LBB0_21
; %bb.20:
	v_mul_f64 v[60:61], v[134:135], s[26:27]
	v_mul_f64 v[66:67], v[98:99], s[36:37]
	s_mov_b32 s43, 0x3fcea1e5
	s_mov_b32 s42, s36
	v_mul_f64 v[64:65], v[136:137], s[4:5]
	v_mul_f64 v[219:220], v[114:115], s[28:29]
	;; [unrolled: 1-line block ×4, first 2 shown]
	v_fma_f64 v[209:210], v[100:101], s[42:43], v[60:61]
	v_fma_f64 v[223:224], v[74:75], s[26:27], v[66:67]
	;; [unrolled: 1-line block ×3, first 2 shown]
	s_mov_b32 s45, 0x3fea55e2
	v_fma_f64 v[217:218], v[102:103], s[14:15], v[64:65]
	v_fma_f64 v[231:232], v[84:85], s[4:5], v[219:220]
	s_mov_b32 s44, s10
	v_mul_f64 v[213:214], v[192:193], s[6:7]
	v_add_f64 v[209:210], v[22:23], v[209:210]
	v_add_f64 v[223:224], v[20:21], v[223:224]
	v_fma_f64 v[227:228], v[90:91], s[30:31], v[215:216]
	v_fma_f64 v[64:65], v[102:103], s[28:29], v[64:65]
	v_add_f64 v[60:61], v[22:23], v[60:61]
	v_fma_f64 v[233:234], v[88:89], s[24:25], v[229:230]
	v_mul_f64 v[211:212], v[202:203], s[18:19]
	v_fma_f64 v[225:226], v[104:105], s[10:11], v[213:214]
	v_add_f64 v[209:210], v[217:218], v[209:210]
	v_mul_f64 v[217:218], v[186:187], s[44:45]
	v_add_f64 v[223:224], v[231:232], v[223:224]
	v_fma_f64 v[215:216], v[90:91], s[20:21], v[215:216]
	v_fma_f64 v[66:67], v[74:75], s[26:27], -v[66:67]
	v_add_f64 v[60:61], v[64:65], v[60:61]
	v_mul_f64 v[64:65], v[188:189], s[34:35]
	s_mov_b32 s39, 0x3fedeba7
	v_add_f64 v[209:210], v[227:228], v[209:210]
	v_fma_f64 v[231:232], v[96:97], s[6:7], v[217:218]
	v_add_f64 v[223:224], v[233:234], v[223:224]
	s_mov_b32 s38, s34
	v_mul_f64 v[62:63], v[206:207], s[12:13]
	v_fma_f64 v[227:228], v[108:109], s[38:39], v[211:212]
	v_fma_f64 v[213:214], v[104:105], s[44:45], v[213:214]
	v_fma_f64 v[219:220], v[84:85], s[4:5], -v[219:220]
	v_add_f64 v[209:210], v[225:226], v[209:210]
	v_add_f64 v[66:67], v[20:21], v[66:67]
	;; [unrolled: 1-line block ×3, first 2 shown]
	v_mul_f64 v[215:216], v[204:205], s[40:41]
	v_fma_f64 v[225:226], v[118:119], s[18:19], v[64:65]
	v_add_f64 v[223:224], v[231:232], v[223:224]
	v_fma_f64 v[231:232], v[146:147], s[22:23], v[62:63]
	v_fma_f64 v[211:212], v[108:109], s[34:35], v[211:212]
	v_fma_f64 v[229:230], v[88:89], s[24:25], -v[229:230]
	v_add_f64 v[66:67], v[219:220], v[66:67]
	v_add_f64 v[60:61], v[213:214], v[60:61]
	;; [unrolled: 1-line block ×3, first 2 shown]
	v_fma_f64 v[213:214], v[148:149], s[12:13], v[215:216]
	v_add_f64 v[219:220], v[225:226], v[223:224]
	v_mul_f64 v[225:226], v[134:135], s[24:25]
	v_fma_f64 v[223:224], v[146:147], s[40:41], v[62:63]
	v_fma_f64 v[217:218], v[96:97], s[6:7], -v[217:218]
	v_add_f64 v[66:67], v[229:230], v[66:67]
	v_add_f64 v[211:212], v[211:212], v[60:61]
	;; [unrolled: 1-line block ×3, first 2 shown]
	v_mul_f64 v[209:210], v[136:137], s[12:13]
	v_add_f64 v[60:61], v[213:214], v[219:220]
	v_mul_f64 v[213:214], v[98:99], s[20:21]
	v_fma_f64 v[219:220], v[100:101], s[30:31], v[225:226]
	v_fma_f64 v[64:65], v[118:119], s[18:19], -v[64:65]
	v_add_f64 v[217:218], v[217:218], v[66:67]
	v_add_f64 v[66:67], v[223:224], v[211:212]
	v_mul_f64 v[211:212], v[138:139], s[6:7]
	v_fma_f64 v[223:224], v[102:103], s[22:23], v[209:210]
	v_mul_f64 v[227:228], v[114:115], s[40:41]
	v_fma_f64 v[229:230], v[74:75], s[24:25], v[213:214]
	v_add_f64 v[219:220], v[22:23], v[219:220]
	v_mul_f64 v[233:234], v[116:117], s[10:11]
	v_add_f64 v[64:65], v[64:65], v[217:218]
	v_mul_f64 v[217:218], v[192:193], s[26:27]
	v_fma_f64 v[231:232], v[90:91], s[44:45], v[211:212]
	v_mul_f64 v[239:240], v[186:187], s[42:43]
	v_fma_f64 v[235:236], v[84:85], s[12:13], v[227:228]
	v_add_f64 v[229:230], v[20:21], v[229:230]
	v_add_f64 v[219:220], v[223:224], v[219:220]
	v_mul_f64 v[223:224], v[202:203], s[4:5]
	v_fma_f64 v[243:244], v[88:89], s[6:7], v[233:234]
	v_fma_f64 v[241:242], v[104:105], s[36:37], v[217:218]
	;; [unrolled: 1-line block ×3, first 2 shown]
	v_fma_f64 v[213:214], v[74:75], s[24:25], -v[213:214]
	v_mul_f64 v[237:238], v[206:207], s[18:19]
	v_add_f64 v[229:230], v[235:236], v[229:230]
	v_add_f64 v[219:220], v[231:232], v[219:220]
	v_fma_f64 v[231:232], v[108:109], s[14:15], v[223:224]
	v_mul_f64 v[235:236], v[188:189], s[28:29]
	v_fma_f64 v[245:246], v[96:97], s[26:27], v[239:240]
	v_fma_f64 v[209:210], v[102:103], s[40:41], v[209:210]
	v_add_f64 v[225:226], v[22:23], v[225:226]
	v_fma_f64 v[227:228], v[84:85], s[12:13], -v[227:228]
	v_add_f64 v[229:230], v[243:244], v[229:230]
	v_add_f64 v[219:220], v[241:242], v[219:220]
	;; [unrolled: 1-line block ×3, first 2 shown]
	v_fma_f64 v[215:216], v[148:149], s[12:13], -v[215:216]
	v_mul_f64 v[241:242], v[204:205], s[34:35]
	v_fma_f64 v[243:244], v[118:119], s[4:5], v[235:236]
	v_fma_f64 v[211:212], v[90:91], s[10:11], v[211:212]
	v_add_f64 v[209:210], v[209:210], v[225:226]
	v_add_f64 v[225:226], v[245:246], v[229:230]
	v_fma_f64 v[229:230], v[146:147], s[38:39], v[237:238]
	v_add_f64 v[219:220], v[231:232], v[219:220]
	v_fma_f64 v[233:234], v[88:89], s[6:7], -v[233:234]
	v_add_f64 v[213:214], v[227:228], v[213:214]
	v_fma_f64 v[231:232], v[148:149], s[18:19], v[241:242]
	v_fma_f64 v[217:218], v[104:105], s[42:43], v[217:218]
	v_add_f64 v[209:210], v[211:212], v[209:210]
	v_add_f64 v[225:226], v[243:244], v[225:226]
	;; [unrolled: 1-line block ×4, first 2 shown]
	v_fma_f64 v[215:216], v[108:109], s[28:29], v[223:224]
	v_fma_f64 v[219:220], v[96:97], s[26:27], -v[239:240]
	v_mul_f64 v[223:224], v[134:135], s[18:19]
	v_add_f64 v[213:214], v[233:234], v[213:214]
	v_mul_f64 v[229:230], v[98:99], s[34:35]
	v_add_f64 v[217:218], v[217:218], v[209:210]
	v_add_f64 v[209:210], v[231:232], v[225:226]
	v_fma_f64 v[225:226], v[146:147], s[34:35], v[237:238]
	v_fma_f64 v[227:228], v[118:119], s[4:5], -v[235:236]
	v_mul_f64 v[231:232], v[136:137], s[24:25]
	v_fma_f64 v[233:234], v[100:101], s[38:39], v[223:224]
	v_add_f64 v[213:214], v[219:220], v[213:214]
	v_mul_f64 v[235:236], v[114:115], s[30:31]
	v_fma_f64 v[237:238], v[74:75], s[18:19], v[229:230]
	v_add_f64 v[215:216], v[215:216], v[217:218]
	v_fma_f64 v[217:218], v[148:149], s[18:19], -v[241:242]
	v_mul_f64 v[219:220], v[138:139], s[4:5]
	v_fma_f64 v[239:240], v[102:103], s[20:21], v[231:232]
	v_add_f64 v[233:234], v[22:23], v[233:234]
	v_add_f64 v[213:214], v[227:228], v[213:214]
	v_mul_f64 v[227:228], v[116:117], s[28:29]
	v_fma_f64 v[241:242], v[84:85], s[24:25], v[235:236]
	v_add_f64 v[237:238], v[20:21], v[237:238]
	v_add_f64 v[215:216], v[225:226], v[215:216]
	;; [unrolled: 4-line block ×3, first 2 shown]
	v_fma_f64 v[217:218], v[100:101], s[34:35], v[223:224]
	v_mul_f64 v[239:240], v[186:187], s[22:23]
	v_fma_f64 v[245:246], v[88:89], s[4:5], v[227:228]
	v_add_f64 v[237:238], v[241:242], v[237:238]
	v_mul_f64 v[223:224], v[202:203], s[26:27]
	v_fma_f64 v[241:242], v[104:105], s[40:41], v[225:226]
	v_add_f64 v[233:234], v[243:244], v[233:234]
	v_fma_f64 v[231:232], v[102:103], s[30:31], v[231:232]
	v_add_f64 v[217:218], v[22:23], v[217:218]
	v_mul_f64 v[247:248], v[188:189], s[42:43]
	v_fma_f64 v[249:250], v[96:97], s[12:13], v[239:240]
	v_add_f64 v[237:238], v[245:246], v[237:238]
	v_mul_f64 v[243:244], v[206:207], s[6:7]
	v_fma_f64 v[245:246], v[108:109], s[36:37], v[223:224]
	v_add_f64 v[233:234], v[241:242], v[233:234]
	v_fma_f64 v[219:220], v[90:91], s[28:29], v[219:220]
	v_add_f64 v[217:218], v[231:232], v[217:218]
	v_mul_f64 v[231:232], v[204:205], s[44:45]
	v_fma_f64 v[251:252], v[118:119], s[26:27], v[247:248]
	v_add_f64 v[237:238], v[249:250], v[237:238]
	v_mul_f64 v[184:185], v[134:135], s[4:5]
	v_mul_f64 v[221:222], v[134:135], s[6:7]
	v_fma_f64 v[249:250], v[146:147], s[10:11], v[243:244]
	v_add_f64 v[233:234], v[245:246], v[233:234]
	v_add_f64 v[217:218], v[219:220], v[217:218]
	v_fma_f64 v[253:254], v[148:149], s[6:7], v[231:232]
	v_fma_f64 v[229:230], v[74:75], s[18:19], -v[229:230]
	v_fma_f64 v[225:226], v[104:105], s[22:23], v[225:226]
	v_add_f64 v[237:238], v[251:252], v[237:238]
	v_mul_f64 v[134:135], v[134:135], s[12:13]
	v_mul_f64 v[178:179], v[136:137], s[6:7]
	;; [unrolled: 1-line block ×3, first 2 shown]
	v_add_f64 v[219:220], v[249:250], v[233:234]
	v_fma_f64 v[223:224], v[108:109], s[42:43], v[223:224]
	v_fma_f64 v[233:234], v[84:85], s[24:25], -v[235:236]
	v_add_f64 v[229:230], v[20:21], v[229:230]
	v_add_f64 v[225:226], v[225:226], v[217:218]
	;; [unrolled: 1-line block ×3, first 2 shown]
	v_mul_f64 v[136:137], v[136:137], s[26:27]
	v_fma_f64 v[237:238], v[100:101], s[40:41], v[134:135]
	v_fma_f64 v[100:101], v[100:101], s[22:23], v[134:135]
	v_add_f64 v[18:19], v[22:23], v[18:19]
	v_add_f64 v[16:17], v[20:21], v[16:17]
	v_mul_f64 v[168:169], v[138:139], s[12:13]
	v_mul_f64 v[196:197], v[138:139], s[26:27]
	;; [unrolled: 1-line block ×3, first 2 shown]
	v_fma_f64 v[227:228], v[88:89], s[4:5], -v[227:228]
	v_add_f64 v[229:230], v[233:234], v[229:230]
	v_add_f64 v[223:224], v[223:224], v[225:226]
	v_mul_f64 v[138:139], v[138:139], s[18:19]
	v_fma_f64 v[225:226], v[102:103], s[42:43], v[136:137]
	v_fma_f64 v[102:103], v[102:103], s[36:37], v[136:137]
	v_add_f64 v[100:101], v[22:23], v[100:101]
	v_add_f64 v[190:191], v[190:191], v[221:222]
	;; [unrolled: 1-line block ×4, first 2 shown]
	v_mul_f64 v[172:173], v[74:75], s[4:5]
	v_mul_f64 v[176:177], v[74:75], s[6:7]
	;; [unrolled: 1-line block ×5, first 2 shown]
	v_fma_f64 v[114:115], v[74:75], s[12:13], v[98:99]
	v_add_f64 v[227:228], v[227:228], v[229:230]
	v_mul_f64 v[192:193], v[192:193], s[4:5]
	v_fma_f64 v[229:230], v[90:91], s[34:35], v[138:139]
	v_fma_f64 v[90:91], v[90:91], s[38:39], v[138:139]
	v_fma_f64 v[74:75], v[74:75], s[12:13], -v[98:99]
	v_add_f64 v[98:99], v[102:103], v[100:101]
	v_add_f64 v[100:101], v[140:141], v[198:199]
	;; [unrolled: 1-line block ×5, first 2 shown]
	v_mul_f64 v[170:171], v[84:85], s[6:7]
	v_mul_f64 v[182:183], v[84:85], s[18:19]
	;; [unrolled: 1-line block ×4, first 2 shown]
	v_fma_f64 v[235:236], v[146:147], s[44:45], v[243:244]
	v_mul_f64 v[243:244], v[116:117], s[38:39]
	v_fma_f64 v[116:117], v[84:85], s[26:27], v[233:234]
	v_mul_f64 v[202:203], v[202:203], s[6:7]
	v_fma_f64 v[28:29], v[104:105], s[28:29], v[192:193]
	v_fma_f64 v[30:31], v[84:85], s[26:27], -v[233:234]
	v_add_f64 v[74:75], v[20:21], v[74:75]
	v_add_f64 v[84:85], v[90:91], v[98:99]
	;; [unrolled: 1-line block ×6, first 2 shown]
	v_fma_f64 v[32:33], v[108:109], s[10:11], v[202:203]
	v_fma_f64 v[34:35], v[88:89], s[18:19], -v[243:244]
	v_add_f64 v[30:31], v[30:31], v[74:75]
	v_add_f64 v[28:29], v[28:29], v[84:85]
	;; [unrolled: 1-line block ×7, first 2 shown]
	v_mul_f64 v[164:165], v[88:89], s[12:13]
	v_add_f64 v[30:31], v[34:35], v[30:31]
	v_add_f64 v[28:29], v[32:33], v[28:29]
	;; [unrolled: 1-line block ×7, first 2 shown]
	v_add_f64 v[56:57], v[176:177], -v[112:113]
	v_mul_f64 v[174:175], v[88:89], s[26:27]
	v_add_f64 v[114:115], v[20:21], v[114:115]
	v_add_f64 v[58:59], v[182:183], -v[120:121]
	v_add_f64 v[32:33], v[32:33], v[34:35]
	v_add_f64 v[34:35], v[172:173], -v[72:73]
	v_add_f64 v[72:73], v[80:81], v[178:179]
	v_add_f64 v[22:23], v[22:23], v[74:75]
	;; [unrolled: 1-line block ×4, first 2 shown]
	v_add_f64 v[74:75], v[170:171], -v[76:77]
	v_fma_f64 v[239:240], v[96:97], s[12:13], -v[239:240]
	v_add_f64 v[54:55], v[86:87], v[168:169]
	v_add_f64 v[34:35], v[20:21], v[34:35]
	;; [unrolled: 1-line block ×6, first 2 shown]
	v_mul_f64 v[158:159], v[96:97], s[18:19]
	v_add_f64 v[56:57], v[164:165], -v[82:83]
	v_mul_f64 v[166:167], v[96:97], s[24:25]
	v_add_f64 v[34:35], v[74:75], v[34:35]
	v_add_f64 v[52:53], v[174:175], -v[122:123]
	v_add_f64 v[20:21], v[58:59], v[20:21]
	v_mul_f64 v[186:187], v[186:187], s[28:29]
	v_add_f64 v[225:226], v[225:226], v[237:238]
	v_fma_f64 v[237:238], v[118:119], s[26:27], -v[247:248]
	v_add_f64 v[227:228], v[239:240], v[227:228]
	v_fma_f64 v[247:248], v[88:89], s[18:19], v[243:244]
	v_add_f64 v[114:115], v[116:117], v[114:115]
	v_add_f64 v[50:51], v[94:95], v[162:163]
	;; [unrolled: 1-line block ×5, first 2 shown]
	v_mul_f64 v[154:155], v[118:119], s[24:25]
	v_add_f64 v[54:55], v[158:159], -v[92:93]
	v_add_f64 v[34:35], v[56:57], v[34:35]
	v_mul_f64 v[160:161], v[118:119], s[12:13]
	v_add_f64 v[48:49], v[166:167], -v[124:125]
	v_add_f64 v[20:21], v[52:53], v[20:21]
	v_mul_f64 v[188:189], v[188:189], s[10:11]
	v_fma_f64 v[42:43], v[96:97], s[4:5], -v[186:187]
	v_mul_f64 v[241:242], v[206:207], s[26:27]
	v_fma_f64 v[239:240], v[104:105], s[14:15], v[192:193]
	v_add_f64 v[116:117], v[229:230], v[225:226]
	v_fma_f64 v[225:226], v[148:149], s[6:7], -v[231:232]
	v_add_f64 v[227:228], v[237:238], v[227:228]
	v_fma_f64 v[231:232], v[96:97], s[4:5], v[186:187]
	v_add_f64 v[237:238], v[247:248], v[114:115]
	v_add_f64 v[38:39], v[110:111], v[156:157]
	;; [unrolled: 1-line block ×5, first 2 shown]
	v_mul_f64 v[180:181], v[148:149], s[26:27]
	v_add_f64 v[50:51], v[154:155], -v[106:107]
	v_add_f64 v[24:25], v[54:55], v[34:35]
	v_mul_f64 v[245:246], v[148:149], s[4:5]
	v_mul_f64 v[251:252], v[206:207], s[4:5]
	v_add_f64 v[36:37], v[160:161], -v[130:131]
	v_add_f64 v[20:21], v[48:49], v[20:21]
	v_mul_f64 v[206:207], v[206:207], s[24:25]
	v_mul_f64 v[134:135], v[204:205], s[20:21]
	v_fma_f64 v[46:47], v[118:119], s[6:7], -v[188:189]
	v_add_f64 v[30:31], v[42:43], v[30:31]
	v_fma_f64 v[229:230], v[108:109], s[44:45], v[202:203]
	v_add_f64 v[239:240], v[239:240], v[116:117]
	v_add_f64 v[116:117], v[235:236], v[223:224]
	;; [unrolled: 1-line block ×3, first 2 shown]
	v_fma_f64 v[223:224], v[118:119], s[6:7], v[188:189]
	v_add_f64 v[225:226], v[231:232], v[237:238]
	v_add_f64 v[34:35], v[128:129], v[241:242]
	;; [unrolled: 1-line block ×5, first 2 shown]
	v_add_f64 v[38:39], v[180:181], -v[126:127]
	v_add_f64 v[48:49], v[50:51], v[24:25]
	v_add_f64 v[42:43], v[152:153], v[251:252]
	v_add_f64 v[26:27], v[245:246], -v[132:133]
	v_add_f64 v[36:37], v[36:37], v[20:21]
	v_fma_f64 v[40:41], v[146:147], s[20:21], v[206:207]
	v_fma_f64 v[44:45], v[148:149], s[24:25], -v[134:135]
	v_add_f64 v[30:31], v[46:47], v[30:31]
	v_fma_f64 v[204:205], v[146:147], s[30:31], v[206:207]
	v_add_f64 v[227:228], v[229:230], v[239:240]
	v_fma_f64 v[136:137], v[148:149], s[24:25], v[134:135]
	v_add_f64 v[221:222], v[223:224], v[225:226]
	v_add_f64 v[20:21], v[34:35], v[22:23]
	;; [unrolled: 1-line block ×9, first 2 shown]
	s_movk_i32 s4, 0xc0
	v_mad_u32_u24 v8, v68, s4, v208
	v_add_f64 v[28:29], v[204:205], v[227:228]
	v_add_f64 v[26:27], v[136:137], v[221:222]
	ds_write_b128 v8, v[22:25]
	ds_write_b128 v8, v[18:21] offset:16
	ds_write_b128 v8, v[14:17] offset:32
	;; [unrolled: 1-line block ×12, first 2 shown]
.LBB0_21:
	s_or_b64 exec, exec, s[16:17]
	s_movk_i32 s4, 0x4f
	v_mul_lo_u16_sdwa v8, v68, s4 dst_sel:DWORD dst_unused:UNUSED_PAD src0_sel:BYTE_0 src1_sel:DWORD
	v_lshrrev_b16_e32 v20, 10, v8
	v_mul_lo_u16_e32 v8, 13, v20
	v_sub_u16_e32 v21, v68, v8
	v_mov_b32_e32 v8, 10
	v_mul_u32_u24_sdwa v8, v21, v8 dst_sel:DWORD dst_unused:UNUSED_PAD src0_sel:BYTE_0 src1_sel:DWORD
	v_lshlrev_b32_e32 v50, 4, v8
	s_waitcnt lgkmcnt(0)
	s_barrier
	global_load_dwordx4 v[8:11], v50, s[8:9]
	global_load_dwordx4 v[12:15], v50, s[8:9] offset:16
	global_load_dwordx4 v[16:19], v50, s[8:9] offset:32
	global_load_dwordx4 v[22:25], v50, s[8:9] offset:48
	global_load_dwordx4 v[26:29], v50, s[8:9] offset:64
	global_load_dwordx4 v[30:33], v50, s[8:9] offset:80
	global_load_dwordx4 v[34:37], v50, s[8:9] offset:96
	global_load_dwordx4 v[38:41], v50, s[8:9] offset:112
	global_load_dwordx4 v[42:45], v50, s[8:9] offset:128
	global_load_dwordx4 v[46:49], v50, s[8:9] offset:144
	ds_read_b128 v[50:53], v208
	ds_read_b128 v[54:57], v208 offset:1664
	ds_read_b128 v[58:61], v208 offset:3328
	;; [unrolled: 1-line block ×10, first 2 shown]
	s_mov_b32 s22, 0xf8bb580b
	s_mov_b32 s23, 0xbfe14ced
	;; [unrolled: 1-line block ×26, first 2 shown]
	v_mul_u32_u24_e32 v20, 0x8f0, v20
	s_waitcnt vmcnt(0) lgkmcnt(0)
	s_barrier
	v_cmp_gt_u32_e32 vcc, 39, v68
	v_mul_f64 v[66:67], v[56:57], v[10:11]
	v_mul_f64 v[10:11], v[54:55], v[10:11]
	;; [unrolled: 1-line block ×14, first 2 shown]
	v_fma_f64 v[54:55], v[54:55], v[8:9], -v[66:67]
	v_mul_f64 v[102:103], v[64:65], v[18:19]
	v_mul_f64 v[18:19], v[62:63], v[18:19]
	;; [unrolled: 1-line block ×6, first 2 shown]
	v_fma_f64 v[8:9], v[56:57], v[8:9], v[10:11]
	v_fma_f64 v[10:11], v[58:59], v[12:13], -v[100:101]
	v_fma_f64 v[58:59], v[76:77], v[26:27], -v[106:107]
	v_fma_f64 v[26:27], v[78:79], v[26:27], v[28:29]
	v_fma_f64 v[28:29], v[80:81], v[30:31], -v[108:109]
	v_fma_f64 v[30:31], v[82:83], v[30:31], v[32:33]
	;; [unrolled: 2-line block ×5, first 2 shown]
	v_add_f64 v[44:45], v[50:51], v[54:55]
	v_fma_f64 v[12:13], v[60:61], v[12:13], v[14:15]
	v_fma_f64 v[14:15], v[62:63], v[16:17], -v[102:103]
	v_fma_f64 v[16:17], v[64:65], v[16:17], v[18:19]
	v_fma_f64 v[18:19], v[72:73], v[22:23], -v[104:105]
	;; [unrolled: 2-line block ×3, first 2 shown]
	v_fma_f64 v[24:25], v[98:99], v[46:47], v[48:49]
	v_add_f64 v[46:47], v[52:53], v[8:9]
	v_add_f64 v[62:63], v[10:11], v[40:41]
	v_add_f64 v[66:67], v[10:11], -v[40:41]
	v_add_f64 v[10:11], v[44:45], v[10:11]
	v_add_f64 v[64:65], v[12:13], v[42:43]
	v_add_f64 v[72:73], v[12:13], -v[42:43]
	v_add_f64 v[48:49], v[54:55], v[22:23]
	v_add_f64 v[60:61], v[8:9], v[24:25]
	;; [unrolled: 1-line block ×3, first 2 shown]
	v_add_f64 v[8:9], v[8:9], -v[24:25]
	v_add_f64 v[54:55], v[54:55], -v[22:23]
	v_add_f64 v[10:11], v[10:11], v[14:15]
	v_mul_f64 v[88:89], v[66:67], s[12:13]
	v_mul_f64 v[86:87], v[72:73], s[12:13]
	;; [unrolled: 1-line block ×3, first 2 shown]
	v_add_f64 v[12:13], v[12:13], v[16:17]
	v_mul_f64 v[44:45], v[8:9], s[22:23]
	v_mul_f64 v[46:47], v[54:55], s[22:23]
	v_add_f64 v[10:11], v[10:11], v[18:19]
	v_mul_f64 v[74:75], v[8:9], s[12:13]
	v_mul_f64 v[76:77], v[54:55], s[12:13]
	;; [unrolled: 1-line block ×4, first 2 shown]
	v_add_f64 v[12:13], v[12:13], v[56:57]
	v_mul_f64 v[82:83], v[8:9], s[18:19]
	v_mul_f64 v[84:85], v[54:55], s[18:19]
	v_add_f64 v[10:11], v[10:11], v[58:59]
	v_mul_f64 v[8:9], v[8:9], s[24:25]
	v_mul_f64 v[54:55], v[54:55], s[24:25]
	v_fma_f64 v[92:93], v[48:49], s[14:15], -v[44:45]
	v_fma_f64 v[94:95], v[60:61], s[14:15], v[46:47]
	v_add_f64 v[12:13], v[12:13], v[26:27]
	v_fma_f64 v[44:45], v[48:49], s[14:15], v[44:45]
	v_fma_f64 v[46:47], v[60:61], s[14:15], -v[46:47]
	v_add_f64 v[10:11], v[10:11], v[28:29]
	v_fma_f64 v[96:97], v[48:49], s[4:5], -v[74:75]
	v_fma_f64 v[98:99], v[60:61], s[4:5], v[76:77]
	v_fma_f64 v[74:75], v[48:49], s[4:5], v[74:75]
	v_fma_f64 v[76:77], v[60:61], s[4:5], -v[76:77]
	v_add_f64 v[12:13], v[12:13], v[30:31]
	v_fma_f64 v[100:101], v[48:49], s[6:7], -v[78:79]
	v_fma_f64 v[102:103], v[60:61], s[6:7], v[80:81]
	v_add_f64 v[10:11], v[10:11], v[32:33]
	v_fma_f64 v[78:79], v[48:49], s[6:7], v[78:79]
	v_fma_f64 v[80:81], v[60:61], s[6:7], -v[80:81]
	v_fma_f64 v[104:105], v[48:49], s[16:17], -v[82:83]
	v_fma_f64 v[106:107], v[60:61], s[16:17], v[84:85]
	v_add_f64 v[12:13], v[12:13], v[34:35]
	v_fma_f64 v[82:83], v[48:49], s[16:17], v[82:83]
	v_fma_f64 v[84:85], v[60:61], s[16:17], -v[84:85]
	v_add_f64 v[10:11], v[10:11], v[36:37]
	v_fma_f64 v[108:109], v[48:49], s[20:21], -v[8:9]
	v_fma_f64 v[110:111], v[60:61], s[20:21], v[54:55]
	v_fma_f64 v[8:9], v[48:49], s[20:21], v[8:9]
	v_fma_f64 v[48:49], v[60:61], s[20:21], -v[54:55]
	v_add_f64 v[12:13], v[12:13], v[38:39]
	v_fma_f64 v[54:55], v[62:63], s[4:5], -v[86:87]
	v_fma_f64 v[60:61], v[64:65], s[4:5], v[88:89]
	v_add_f64 v[10:11], v[10:11], v[40:41]
	v_fma_f64 v[86:87], v[62:63], s[4:5], v[86:87]
	v_add_f64 v[92:93], v[50:51], v[92:93]
	v_add_f64 v[94:95], v[52:53], v[94:95]
	;; [unrolled: 1-line block ×7, first 2 shown]
	v_mul_f64 v[10:11], v[66:67], s[18:19]
	v_add_f64 v[74:75], v[50:51], v[74:75]
	v_add_f64 v[100:101], v[50:51], v[100:101]
	;; [unrolled: 1-line block ×12, first 2 shown]
	v_fma_f64 v[54:55], v[64:65], s[16:17], v[10:11]
	v_mul_f64 v[60:61], v[72:73], s[30:31]
	v_mul_f64 v[86:87], v[66:67], s[30:31]
	v_fma_f64 v[88:89], v[64:65], s[4:5], -v[88:89]
	v_add_f64 v[46:47], v[52:53], v[46:47]
	v_add_f64 v[80:81], v[52:53], v[80:81]
	v_fma_f64 v[112:113], v[62:63], s[16:17], -v[90:91]
	v_add_f64 v[42:43], v[52:53], v[106:107]
	v_add_f64 v[54:55], v[54:55], v[98:99]
	v_fma_f64 v[92:93], v[62:63], s[20:21], -v[60:61]
	v_fma_f64 v[94:95], v[64:65], s[20:21], v[86:87]
	v_fma_f64 v[60:61], v[62:63], s[20:21], v[60:61]
	v_fma_f64 v[86:87], v[64:65], s[20:21], -v[86:87]
	v_mul_f64 v[98:99], v[66:67], s[28:29]
	v_add_f64 v[46:47], v[88:89], v[46:47]
	v_mul_f64 v[88:89], v[72:73], s[28:29]
	v_add_f64 v[76:77], v[52:53], v[76:77]
	v_add_f64 v[102:103], v[52:53], v[102:103]
	;; [unrolled: 1-line block ×5, first 2 shown]
	v_fma_f64 v[80:81], v[64:65], s[6:7], v[98:99]
	v_add_f64 v[106:107], v[52:53], v[110:111]
	v_add_f64 v[52:53], v[112:113], v[96:97]
	v_fma_f64 v[90:91], v[62:63], s[16:17], v[90:91]
	v_fma_f64 v[10:11], v[64:65], s[16:17], -v[10:11]
	v_fma_f64 v[96:97], v[62:63], s[6:7], -v[88:89]
	v_fma_f64 v[86:87], v[62:63], s[6:7], v[88:89]
	v_add_f64 v[88:89], v[16:17], -v[38:39]
	v_mul_f64 v[72:73], v[72:73], s[26:27]
	v_mul_f64 v[66:67], v[66:67], s[26:27]
	v_add_f64 v[42:43], v[80:81], v[42:43]
	v_add_f64 v[80:81], v[14:15], -v[36:37]
	v_add_f64 v[74:75], v[90:91], v[74:75]
	v_add_f64 v[10:11], v[10:11], v[76:77]
	;; [unrolled: 1-line block ×4, first 2 shown]
	v_fma_f64 v[92:93], v[64:65], s[6:7], -v[98:99]
	v_add_f64 v[82:83], v[86:87], v[82:83]
	v_add_f64 v[14:15], v[14:15], v[36:37]
	v_mul_f64 v[36:37], v[88:89], s[10:11]
	v_fma_f64 v[86:87], v[62:63], s[14:15], -v[72:73]
	v_fma_f64 v[94:95], v[64:65], s[14:15], v[66:67]
	v_add_f64 v[16:17], v[16:17], v[38:39]
	v_mul_f64 v[38:39], v[80:81], s[10:11]
	v_add_f64 v[40:41], v[96:97], v[40:41]
	v_add_f64 v[84:85], v[92:93], v[84:85]
	v_fma_f64 v[62:63], v[62:63], s[14:15], v[72:73]
	v_fma_f64 v[64:65], v[64:65], s[14:15], -v[66:67]
	v_fma_f64 v[66:67], v[14:15], s[6:7], -v[36:37]
	v_add_f64 v[72:73], v[86:87], v[104:105]
	v_add_f64 v[86:87], v[94:95], v[106:107]
	v_mul_f64 v[92:93], v[88:89], s[30:31]
	v_mul_f64 v[94:95], v[80:81], s[30:31]
	v_fma_f64 v[96:97], v[16:17], s[6:7], v[38:39]
	s_mov_b32 s13, 0x3fed1bb4
	v_add_f64 v[8:9], v[62:63], v[8:9]
	v_add_f64 v[12:13], v[64:65], v[12:13]
	v_add_f64 v[48:49], v[66:67], v[48:49]
	v_fma_f64 v[36:37], v[14:15], s[6:7], v[36:37]
	v_fma_f64 v[38:39], v[16:17], s[6:7], -v[38:39]
	v_fma_f64 v[62:63], v[14:15], s[20:21], -v[92:93]
	v_fma_f64 v[64:65], v[16:17], s[20:21], v[94:95]
	v_add_f64 v[50:51], v[96:97], v[50:51]
	v_mul_f64 v[66:67], v[88:89], s[12:13]
	v_mul_f64 v[96:97], v[80:81], s[12:13]
	v_add_f64 v[36:37], v[36:37], v[44:45]
	v_add_f64 v[38:39], v[38:39], v[46:47]
	;; [unrolled: 1-line block ×4, first 2 shown]
	v_fma_f64 v[52:53], v[14:15], s[20:21], v[92:93]
	v_fma_f64 v[54:55], v[16:17], s[20:21], -v[94:95]
	v_fma_f64 v[62:63], v[14:15], s[4:5], -v[66:67]
	v_fma_f64 v[64:65], v[16:17], s[4:5], v[96:97]
	v_mul_f64 v[92:93], v[88:89], s[22:23]
	v_mul_f64 v[94:95], v[80:81], s[22:23]
	v_fma_f64 v[66:67], v[14:15], s[4:5], v[66:67]
	v_fma_f64 v[96:97], v[16:17], s[4:5], -v[96:97]
	v_add_f64 v[52:53], v[52:53], v[74:75]
	v_add_f64 v[10:11], v[54:55], v[10:11]
	;; [unrolled: 1-line block ×4, first 2 shown]
	v_fma_f64 v[64:65], v[14:15], s[14:15], -v[92:93]
	v_fma_f64 v[74:75], v[16:17], s[14:15], v[94:95]
	v_add_f64 v[60:61], v[66:67], v[60:61]
	v_add_f64 v[66:67], v[96:97], v[78:79]
	v_mul_f64 v[78:79], v[80:81], s[18:19]
	v_mul_f64 v[76:77], v[88:89], s[18:19]
	v_fma_f64 v[80:81], v[14:15], s[14:15], v[92:93]
	v_fma_f64 v[88:89], v[16:17], s[14:15], -v[94:95]
	v_add_f64 v[40:41], v[64:65], v[40:41]
	v_add_f64 v[42:43], v[74:75], v[42:43]
	v_add_f64 v[64:65], v[56:57], -v[34:35]
	v_add_f64 v[74:75], v[18:19], -v[32:33]
	v_fma_f64 v[92:93], v[16:17], s[16:17], v[78:79]
	v_add_f64 v[18:19], v[18:19], v[32:33]
	v_add_f64 v[32:33], v[56:57], v[34:35]
	;; [unrolled: 1-line block ×4, first 2 shown]
	v_fma_f64 v[90:91], v[14:15], s[16:17], -v[76:77]
	v_mul_f64 v[34:35], v[64:65], s[18:19]
	v_mul_f64 v[56:57], v[74:75], s[18:19]
	v_add_f64 v[84:85], v[92:93], v[86:87]
	v_fma_f64 v[14:15], v[14:15], s[16:17], v[76:77]
	v_fma_f64 v[16:17], v[16:17], s[16:17], -v[78:79]
	v_mul_f64 v[76:77], v[64:65], s[28:29]
	v_mul_f64 v[78:79], v[74:75], s[28:29]
	v_add_f64 v[72:73], v[90:91], v[72:73]
	v_fma_f64 v[86:87], v[18:19], s[16:17], -v[34:35]
	v_fma_f64 v[88:89], v[32:33], s[16:17], v[56:57]
	v_fma_f64 v[34:35], v[18:19], s[16:17], v[34:35]
	v_fma_f64 v[56:57], v[32:33], s[16:17], -v[56:57]
	v_add_f64 v[8:9], v[14:15], v[8:9]
	v_add_f64 v[12:13], v[16:17], v[12:13]
	v_fma_f64 v[14:15], v[18:19], s[6:7], -v[76:77]
	v_fma_f64 v[16:17], v[32:33], s[6:7], v[78:79]
	v_add_f64 v[48:49], v[86:87], v[48:49]
	v_add_f64 v[50:51], v[88:89], v[50:51]
	;; [unrolled: 1-line block ×4, first 2 shown]
	v_mul_f64 v[38:39], v[64:65], s[22:23]
	v_mul_f64 v[56:57], v[74:75], s[22:23]
	v_add_f64 v[14:15], v[14:15], v[44:45]
	v_add_f64 v[44:45], v[16:17], v[46:47]
	v_mul_f64 v[16:17], v[64:65], s[24:25]
	v_fma_f64 v[76:77], v[18:19], s[6:7], v[76:77]
	v_mul_f64 v[46:47], v[74:75], s[24:25]
	v_fma_f64 v[78:79], v[32:33], s[6:7], -v[78:79]
	v_fma_f64 v[86:87], v[18:19], s[14:15], -v[38:39]
	v_fma_f64 v[38:39], v[18:19], s[14:15], v[38:39]
	v_fma_f64 v[88:89], v[32:33], s[14:15], v[56:57]
	v_fma_f64 v[56:57], v[32:33], s[14:15], -v[56:57]
	v_mul_f64 v[74:75], v[74:75], s[12:13]
	v_fma_f64 v[90:91], v[18:19], s[20:21], -v[16:17]
	v_add_f64 v[52:53], v[76:77], v[52:53]
	v_mul_f64 v[64:65], v[64:65], s[12:13]
	v_fma_f64 v[16:17], v[18:19], s[20:21], v[16:17]
	v_add_f64 v[38:39], v[38:39], v[60:61]
	v_add_f64 v[60:61], v[26:27], -v[30:31]
	v_add_f64 v[56:57], v[56:57], v[66:67]
	v_add_f64 v[66:67], v[58:59], -v[28:29]
	v_add_f64 v[58:59], v[58:59], v[28:29]
	v_add_f64 v[76:77], v[26:27], v[30:31]
	v_fma_f64 v[92:93], v[32:33], s[20:21], v[46:47]
	v_add_f64 v[10:11], v[78:79], v[10:11]
	v_fma_f64 v[46:47], v[32:33], s[20:21], -v[46:47]
	v_mul_f64 v[30:31], v[60:61], s[24:25]
	v_fma_f64 v[28:29], v[32:33], s[4:5], v[74:75]
	v_mul_f64 v[78:79], v[66:67], s[24:25]
	v_fma_f64 v[26:27], v[18:19], s[4:5], -v[64:65]
	v_add_f64 v[80:81], v[16:17], v[80:81]
	v_fma_f64 v[16:17], v[18:19], s[4:5], v[64:65]
	v_fma_f64 v[18:19], v[32:33], s[4:5], -v[74:75]
	v_add_f64 v[46:47], v[46:47], v[82:83]
	v_fma_f64 v[32:33], v[58:59], s[20:21], -v[30:31]
	v_add_f64 v[74:75], v[28:29], v[84:85]
	v_fma_f64 v[64:65], v[76:77], s[20:21], v[78:79]
	v_mul_f64 v[82:83], v[60:61], s[26:27]
	v_mul_f64 v[84:85], v[66:67], s[26:27]
	v_add_f64 v[54:55], v[86:87], v[54:55]
	v_add_f64 v[72:73], v[26:27], v[72:73]
	;; [unrolled: 1-line block ×4, first 2 shown]
	v_fma_f64 v[8:9], v[58:59], s[20:21], v[30:31]
	v_mul_f64 v[48:49], v[60:61], s[18:19]
	v_add_f64 v[62:63], v[88:89], v[62:63]
	v_add_f64 v[88:89], v[18:19], v[12:13]
	v_add_f64 v[28:29], v[64:65], v[50:51]
	v_fma_f64 v[12:13], v[76:77], s[20:21], -v[78:79]
	v_fma_f64 v[30:31], v[58:59], s[14:15], -v[82:83]
	v_fma_f64 v[32:33], v[76:77], s[14:15], v[84:85]
	v_mul_f64 v[50:51], v[66:67], s[18:19]
	v_fma_f64 v[78:79], v[76:77], s[14:15], -v[84:85]
	v_fma_f64 v[64:65], v[58:59], s[14:15], v[82:83]
	v_add_f64 v[16:17], v[8:9], v[34:35]
	v_fma_f64 v[8:9], v[58:59], s[16:17], -v[48:49]
	v_add_f64 v[18:19], v[12:13], v[36:37]
	v_add_f64 v[30:31], v[30:31], v[14:15]
	;; [unrolled: 1-line block ×3, first 2 shown]
	v_fma_f64 v[36:37], v[76:77], s[16:17], v[50:51]
	v_add_f64 v[14:15], v[78:79], v[10:11]
	v_fma_f64 v[10:11], v[58:59], s[16:17], v[48:49]
	v_fma_f64 v[44:45], v[76:77], s[16:17], -v[50:51]
	v_mul_f64 v[48:49], v[60:61], s[12:13]
	v_mul_f64 v[50:51], v[66:67], s[12:13]
	v_add_f64 v[12:13], v[64:65], v[52:53]
	v_add_f64 v[34:35], v[8:9], v[54:55]
	v_mul_f64 v[52:53], v[60:61], s[10:11]
	v_mul_f64 v[54:55], v[66:67], s[10:11]
	v_add_f64 v[40:41], v[90:91], v[40:41]
	v_add_f64 v[42:43], v[92:93], v[42:43]
	;; [unrolled: 1-line block ×4, first 2 shown]
	v_fma_f64 v[38:39], v[58:59], s[4:5], -v[48:49]
	v_fma_f64 v[44:45], v[76:77], s[4:5], v[50:51]
	v_fma_f64 v[48:49], v[58:59], s[4:5], v[48:49]
	v_fma_f64 v[50:51], v[76:77], s[4:5], -v[50:51]
	v_fma_f64 v[56:57], v[58:59], s[6:7], -v[52:53]
	v_fma_f64 v[60:61], v[76:77], s[6:7], v[54:55]
	v_fma_f64 v[52:53], v[58:59], s[6:7], v[52:53]
	v_fma_f64 v[54:55], v[76:77], s[6:7], -v[54:55]
	v_add_f64 v[36:37], v[36:37], v[62:63]
	v_add_f64 v[38:39], v[38:39], v[40:41]
	;; [unrolled: 1-line block ×9, first 2 shown]
	v_mov_b32_e32 v54, 4
	v_lshlrev_b32_sdwa v21, v54, v21 dst_sel:DWORD dst_unused:UNUSED_PAD src0_sel:DWORD src1_sel:BYTE_0
	v_add3_u32 v20, 0, v20, v21
	ds_write_b128 v20, v[22:25]
	ds_write_b128 v20, v[26:29] offset:208
	ds_write_b128 v20, v[30:33] offset:416
	;; [unrolled: 1-line block ×10, first 2 shown]
	s_waitcnt lgkmcnt(0)
	s_barrier
	ds_read_b128 v[32:35], v208
	ds_read_b128 v[60:63], v208 offset:2288
	ds_read_b128 v[56:59], v208 offset:4576
	;; [unrolled: 1-line block ×7, first 2 shown]
                                        ; implicit-def: $vgpr26_vgpr27
                                        ; implicit-def: $vgpr30_vgpr31
                                        ; implicit-def: $vgpr22_vgpr23
	s_and_saveexec_b64 s[4:5], vcc
	s_cbranch_execz .LBB0_23
; %bb.22:
	ds_read_b128 v[8:11], v208 offset:1664
	ds_read_b128 v[12:15], v208 offset:3952
	;; [unrolled: 1-line block ×8, first 2 shown]
.LBB0_23:
	s_or_b64 exec, exec, s[4:5]
	v_mul_u32_u24_e32 v64, 7, v68
	v_lshlrev_b32_e32 v69, 4, v64
	global_load_dwordx4 v[64:67], v69, s[8:9] offset:2080
	global_load_dwordx4 v[72:75], v69, s[8:9] offset:2096
	;; [unrolled: 1-line block ×7, first 2 shown]
	s_mov_b32 s4, 0x667f3bcd
	s_mov_b32 s5, 0xbfe6a09e
	;; [unrolled: 1-line block ×4, first 2 shown]
	s_waitcnt vmcnt(0) lgkmcnt(0)
	s_barrier
	v_mul_f64 v[96:97], v[62:63], v[66:67]
	v_mul_f64 v[66:67], v[60:61], v[66:67]
	;; [unrolled: 1-line block ×14, first 2 shown]
	v_fma_f64 v[60:61], v[60:61], v[64:65], -v[96:97]
	v_fma_f64 v[62:63], v[62:63], v[64:65], v[66:67]
	v_fma_f64 v[56:57], v[56:57], v[72:73], -v[98:99]
	v_fma_f64 v[58:59], v[58:59], v[72:73], v[74:75]
	;; [unrolled: 2-line block ×7, first 2 shown]
	v_add_f64 v[44:45], v[32:33], -v[44:45]
	v_add_f64 v[46:47], v[34:35], -v[46:47]
	;; [unrolled: 1-line block ×8, first 2 shown]
	v_fma_f64 v[32:33], v[32:33], 2.0, -v[44:45]
	v_fma_f64 v[34:35], v[34:35], 2.0, -v[46:47]
	;; [unrolled: 1-line block ×6, first 2 shown]
	v_add_f64 v[64:65], v[44:45], -v[50:51]
	v_add_f64 v[66:67], v[46:47], v[48:49]
	v_fma_f64 v[48:49], v[52:53], 2.0, -v[40:41]
	v_fma_f64 v[50:51], v[54:55], 2.0, -v[42:43]
	v_add_f64 v[42:43], v[36:37], -v[42:43]
	v_add_f64 v[40:41], v[38:39], v[40:41]
	v_add_f64 v[52:53], v[32:33], -v[56:57]
	v_add_f64 v[54:55], v[34:35], -v[58:59]
	v_fma_f64 v[72:73], v[44:45], 2.0, -v[64:65]
	v_fma_f64 v[74:75], v[46:47], 2.0, -v[66:67]
	v_add_f64 v[44:45], v[60:61], -v[48:49]
	v_add_f64 v[46:47], v[62:63], -v[50:51]
	v_fma_f64 v[48:49], v[36:37], 2.0, -v[42:43]
	v_fma_f64 v[50:51], v[38:39], 2.0, -v[40:41]
	v_fma_f64 v[36:37], v[42:43], s[6:7], v[64:65]
	v_fma_f64 v[38:39], v[40:41], s[6:7], v[66:67]
	v_fma_f64 v[56:57], v[32:33], 2.0, -v[52:53]
	v_fma_f64 v[58:59], v[34:35], 2.0, -v[54:55]
	;; [unrolled: 1-line block ×4, first 2 shown]
	v_fma_f64 v[76:77], v[48:49], s[4:5], v[72:73]
	v_fma_f64 v[78:79], v[50:51], s[4:5], v[74:75]
	v_add_f64 v[32:33], v[52:53], -v[46:47]
	v_add_f64 v[34:35], v[54:55], v[44:45]
	v_fma_f64 v[36:37], v[40:41], s[4:5], v[36:37]
	v_fma_f64 v[38:39], v[42:43], s[6:7], v[38:39]
	v_add_f64 v[40:41], v[56:57], -v[60:61]
	v_add_f64 v[42:43], v[58:59], -v[62:63]
	v_fma_f64 v[44:45], v[50:51], s[4:5], v[76:77]
	v_fma_f64 v[46:47], v[48:49], s[6:7], v[78:79]
	v_fma_f64 v[48:49], v[52:53], 2.0, -v[32:33]
	v_fma_f64 v[50:51], v[54:55], 2.0, -v[34:35]
	v_fma_f64 v[52:53], v[64:65], 2.0, -v[36:37]
	v_fma_f64 v[54:55], v[66:67], 2.0, -v[38:39]
	v_fma_f64 v[56:57], v[56:57], 2.0, -v[40:41]
	v_fma_f64 v[58:59], v[58:59], 2.0, -v[42:43]
	v_fma_f64 v[60:61], v[72:73], 2.0, -v[44:45]
	v_fma_f64 v[62:63], v[74:75], 2.0, -v[46:47]
	ds_write_b128 v208, v[32:35] offset:13728
	ds_write_b128 v208, v[48:51] offset:4576
	;; [unrolled: 1-line block ×5, first 2 shown]
	ds_write_b128 v208, v[56:59]
	ds_write_b128 v208, v[60:63] offset:2288
	ds_write_b128 v208, v[36:39] offset:16016
	s_and_saveexec_b64 s[10:11], vcc
	s_cbranch_execz .LBB0_25
; %bb.24:
	v_add_u32_e32 v32, 0x68, v68
	v_subrev_u32_e32 v33, 39, v68
	v_cndmask_b32_e32 v32, v33, v32, vcc
	v_mul_i32_i24_e32 v32, 7, v32
	v_mov_b32_e32 v33, 0
	v_lshlrev_b64 v[32:33], 4, v[32:33]
	v_mov_b32_e32 v34, s9
	v_add_co_u32_e32 v60, vcc, s8, v32
	v_addc_co_u32_e32 v61, vcc, v34, v33, vcc
	global_load_dwordx4 v[32:35], v[60:61], off offset:2096
	global_load_dwordx4 v[36:39], v[60:61], off offset:2160
	;; [unrolled: 1-line block ×7, first 2 shown]
	s_waitcnt vmcnt(6)
	v_mul_f64 v[60:61], v[18:19], v[34:35]
	s_waitcnt vmcnt(5)
	v_mul_f64 v[62:63], v[26:27], v[38:39]
	;; [unrolled: 2-line block ×7, first 2 shown]
	v_mul_f64 v[46:47], v[12:13], v[46:47]
	v_mul_f64 v[50:51], v[20:21], v[50:51]
	;; [unrolled: 1-line block ×7, first 2 shown]
	v_fma_f64 v[16:17], v[16:17], v[32:33], -v[60:61]
	v_fma_f64 v[24:25], v[24:25], v[36:37], -v[62:63]
	v_fma_f64 v[6:7], v[6:7], v[40:41], v[64:65]
	v_fma_f64 v[12:13], v[12:13], v[44:45], -v[66:67]
	v_fma_f64 v[20:21], v[20:21], v[48:49], -v[72:73]
	v_fma_f64 v[2:3], v[2:3], v[52:53], v[74:75]
	v_fma_f64 v[14:15], v[14:15], v[44:45], v[46:47]
	v_fma_f64 v[22:23], v[22:23], v[48:49], v[50:51]
	v_fma_f64 v[0:1], v[0:1], v[52:53], -v[54:55]
	v_fma_f64 v[28:29], v[28:29], v[56:57], -v[58:59]
	v_fma_f64 v[18:19], v[18:19], v[32:33], v[34:35]
	v_fma_f64 v[26:27], v[26:27], v[36:37], v[38:39]
	;; [unrolled: 1-line block ×3, first 2 shown]
	v_fma_f64 v[4:5], v[4:5], v[40:41], -v[42:43]
	v_add_f64 v[24:25], v[16:17], -v[24:25]
	v_add_f64 v[6:7], v[10:11], -v[6:7]
	;; [unrolled: 1-line block ×8, first 2 shown]
	v_fma_f64 v[16:17], v[16:17], 2.0, -v[24:25]
	v_add_f64 v[32:33], v[6:7], v[24:25]
	v_fma_f64 v[10:11], v[10:11], 2.0, -v[6:7]
	v_add_f64 v[34:35], v[22:23], v[28:29]
	v_fma_f64 v[12:13], v[12:13], 2.0, -v[20:21]
	v_fma_f64 v[18:19], v[18:19], 2.0, -v[26:27]
	;; [unrolled: 1-line block ×6, first 2 shown]
	v_add_f64 v[24:25], v[20:21], -v[30:31]
	v_add_f64 v[26:27], v[4:5], -v[26:27]
	v_fma_f64 v[30:31], v[6:7], 2.0, -v[32:33]
	v_add_f64 v[28:29], v[10:11], -v[18:19]
	v_fma_f64 v[18:19], v[22:23], 2.0, -v[34:35]
	v_add_f64 v[0:1], v[12:13], -v[0:1]
	v_add_f64 v[16:17], v[8:9], -v[16:17]
	;; [unrolled: 1-line block ×3, first 2 shown]
	v_fma_f64 v[20:21], v[20:21], 2.0, -v[24:25]
	v_fma_f64 v[36:37], v[4:5], 2.0, -v[26:27]
	v_fma_f64 v[2:3], v[34:35], s[6:7], v[32:33]
	v_fma_f64 v[38:39], v[24:25], s[6:7], v[26:27]
	;; [unrolled: 1-line block ×3, first 2 shown]
	v_fma_f64 v[42:43], v[10:11], 2.0, -v[28:29]
	v_fma_f64 v[44:45], v[8:9], 2.0, -v[16:17]
	;; [unrolled: 1-line block ×4, first 2 shown]
	v_fma_f64 v[46:47], v[20:21], s[4:5], v[36:37]
	v_add_f64 v[6:7], v[28:29], v[0:1]
	v_add_f64 v[4:5], v[16:17], -v[22:23]
	v_fma_f64 v[2:3], v[24:25], s[6:7], v[2:3]
	v_fma_f64 v[0:1], v[34:35], s[4:5], v[38:39]
	;; [unrolled: 1-line block ×3, first 2 shown]
	v_add_f64 v[14:15], v[42:43], -v[14:15]
	v_add_f64 v[12:13], v[44:45], -v[8:9]
	v_fma_f64 v[8:9], v[18:19], s[4:5], v[46:47]
	v_fma_f64 v[22:23], v[28:29], 2.0, -v[6:7]
	v_fma_f64 v[20:21], v[16:17], 2.0, -v[4:5]
	;; [unrolled: 1-line block ×8, first 2 shown]
	ds_write_b128 v208, v[4:7] offset:15392
	ds_write_b128 v208, v[20:23] offset:6240
	;; [unrolled: 1-line block ×8, first 2 shown]
.LBB0_25:
	s_or_b64 exec, exec, s[10:11]
	s_waitcnt lgkmcnt(0)
	s_barrier
	s_and_saveexec_b64 s[4:5], s[0:1]
	s_cbranch_execz .LBB0_27
; %bb.26:
	v_lshl_add_u32 v10, v68, 4, 0
	v_mov_b32_e32 v69, 0
	ds_read_b128 v[0:3], v10
	v_mov_b32_e32 v4, s3
	v_add_co_u32_e32 v11, vcc, s2, v70
	v_addc_co_u32_e32 v12, vcc, v4, v71, vcc
	v_lshlrev_b64 v[4:5], 4, v[68:69]
	v_add_co_u32_e32 v8, vcc, v11, v4
	v_addc_co_u32_e32 v9, vcc, v12, v5, vcc
	ds_read_b128 v[4:7], v10 offset:1664
	s_waitcnt lgkmcnt(1)
	global_store_dwordx4 v[8:9], v[0:3], off
	s_nop 0
	v_add_u32_e32 v0, 0x68, v68
	v_mov_b32_e32 v1, v69
	v_lshlrev_b64 v[0:1], 4, v[0:1]
	v_add_co_u32_e32 v0, vcc, v11, v0
	v_addc_co_u32_e32 v1, vcc, v12, v1, vcc
	s_waitcnt lgkmcnt(0)
	global_store_dwordx4 v[0:1], v[4:7], off
	ds_read_b128 v[0:3], v10 offset:3328
	v_add_u32_e32 v4, 0xd0, v68
	v_mov_b32_e32 v5, v69
	v_lshlrev_b64 v[4:5], 4, v[4:5]
	v_add_co_u32_e32 v8, vcc, v11, v4
	v_addc_co_u32_e32 v9, vcc, v12, v5, vcc
	ds_read_b128 v[4:7], v10 offset:4992
	s_waitcnt lgkmcnt(1)
	global_store_dwordx4 v[8:9], v[0:3], off
	s_nop 0
	v_add_u32_e32 v0, 0x138, v68
	v_mov_b32_e32 v1, v69
	v_lshlrev_b64 v[0:1], 4, v[0:1]
	v_add_co_u32_e32 v0, vcc, v11, v0
	v_addc_co_u32_e32 v1, vcc, v12, v1, vcc
	s_waitcnt lgkmcnt(0)
	global_store_dwordx4 v[0:1], v[4:7], off
	ds_read_b128 v[0:3], v10 offset:6656
	v_add_u32_e32 v4, 0x1a0, v68
	v_mov_b32_e32 v5, v69
	;; [unrolled: 17-line block ×4, first 2 shown]
	v_lshlrev_b64 v[4:5], 4, v[4:5]
	v_add_co_u32_e32 v8, vcc, v11, v4
	v_addc_co_u32_e32 v9, vcc, v12, v5, vcc
	ds_read_b128 v[4:7], v10 offset:14976
	s_waitcnt lgkmcnt(1)
	global_store_dwordx4 v[8:9], v[0:3], off
	s_nop 0
	v_add_u32_e32 v0, 0x3a8, v68
	v_mov_b32_e32 v1, v69
	v_lshlrev_b64 v[0:1], 4, v[0:1]
	v_add_u32_e32 v68, 0x410, v68
	v_add_co_u32_e32 v0, vcc, v11, v0
	v_addc_co_u32_e32 v1, vcc, v12, v1, vcc
	s_waitcnt lgkmcnt(0)
	global_store_dwordx4 v[0:1], v[4:7], off
	ds_read_b128 v[0:3], v10 offset:16640
	v_lshlrev_b64 v[4:5], 4, v[68:69]
	v_add_co_u32_e32 v4, vcc, v11, v4
	v_addc_co_u32_e32 v5, vcc, v12, v5, vcc
	s_waitcnt lgkmcnt(0)
	global_store_dwordx4 v[4:5], v[0:3], off
.LBB0_27:
	s_endpgm
	.section	.rodata,"a",@progbits
	.p2align	6, 0x0
	.amdhsa_kernel fft_rtc_fwd_len1144_factors_13_11_8_wgs_104_tpt_104_dp_ip_CI_unitstride_sbrr_C2R_dirReg
		.amdhsa_group_segment_fixed_size 0
		.amdhsa_private_segment_fixed_size 0
		.amdhsa_kernarg_size 88
		.amdhsa_user_sgpr_count 6
		.amdhsa_user_sgpr_private_segment_buffer 1
		.amdhsa_user_sgpr_dispatch_ptr 0
		.amdhsa_user_sgpr_queue_ptr 0
		.amdhsa_user_sgpr_kernarg_segment_ptr 1
		.amdhsa_user_sgpr_dispatch_id 0
		.amdhsa_user_sgpr_flat_scratch_init 0
		.amdhsa_user_sgpr_private_segment_size 0
		.amdhsa_uses_dynamic_stack 0
		.amdhsa_system_sgpr_private_segment_wavefront_offset 0
		.amdhsa_system_sgpr_workgroup_id_x 1
		.amdhsa_system_sgpr_workgroup_id_y 0
		.amdhsa_system_sgpr_workgroup_id_z 0
		.amdhsa_system_sgpr_workgroup_info 0
		.amdhsa_system_vgpr_workitem_id 0
		.amdhsa_next_free_vgpr 255
		.amdhsa_next_free_sgpr 46
		.amdhsa_reserve_vcc 1
		.amdhsa_reserve_flat_scratch 0
		.amdhsa_float_round_mode_32 0
		.amdhsa_float_round_mode_16_64 0
		.amdhsa_float_denorm_mode_32 3
		.amdhsa_float_denorm_mode_16_64 3
		.amdhsa_dx10_clamp 1
		.amdhsa_ieee_mode 1
		.amdhsa_fp16_overflow 0
		.amdhsa_exception_fp_ieee_invalid_op 0
		.amdhsa_exception_fp_denorm_src 0
		.amdhsa_exception_fp_ieee_div_zero 0
		.amdhsa_exception_fp_ieee_overflow 0
		.amdhsa_exception_fp_ieee_underflow 0
		.amdhsa_exception_fp_ieee_inexact 0
		.amdhsa_exception_int_div_zero 0
	.end_amdhsa_kernel
	.text
.Lfunc_end0:
	.size	fft_rtc_fwd_len1144_factors_13_11_8_wgs_104_tpt_104_dp_ip_CI_unitstride_sbrr_C2R_dirReg, .Lfunc_end0-fft_rtc_fwd_len1144_factors_13_11_8_wgs_104_tpt_104_dp_ip_CI_unitstride_sbrr_C2R_dirReg
                                        ; -- End function
	.section	.AMDGPU.csdata,"",@progbits
; Kernel info:
; codeLenInByte = 12156
; NumSgprs: 50
; NumVgprs: 255
; ScratchSize: 0
; MemoryBound: 0
; FloatMode: 240
; IeeeMode: 1
; LDSByteSize: 0 bytes/workgroup (compile time only)
; SGPRBlocks: 6
; VGPRBlocks: 63
; NumSGPRsForWavesPerEU: 50
; NumVGPRsForWavesPerEU: 255
; Occupancy: 1
; WaveLimiterHint : 1
; COMPUTE_PGM_RSRC2:SCRATCH_EN: 0
; COMPUTE_PGM_RSRC2:USER_SGPR: 6
; COMPUTE_PGM_RSRC2:TRAP_HANDLER: 0
; COMPUTE_PGM_RSRC2:TGID_X_EN: 1
; COMPUTE_PGM_RSRC2:TGID_Y_EN: 0
; COMPUTE_PGM_RSRC2:TGID_Z_EN: 0
; COMPUTE_PGM_RSRC2:TIDIG_COMP_CNT: 0
	.type	__hip_cuid_7c952d3a7137949d,@object ; @__hip_cuid_7c952d3a7137949d
	.section	.bss,"aw",@nobits
	.globl	__hip_cuid_7c952d3a7137949d
__hip_cuid_7c952d3a7137949d:
	.byte	0                               ; 0x0
	.size	__hip_cuid_7c952d3a7137949d, 1

	.ident	"AMD clang version 19.0.0git (https://github.com/RadeonOpenCompute/llvm-project roc-6.4.0 25133 c7fe45cf4b819c5991fe208aaa96edf142730f1d)"
	.section	".note.GNU-stack","",@progbits
	.addrsig
	.addrsig_sym __hip_cuid_7c952d3a7137949d
	.amdgpu_metadata
---
amdhsa.kernels:
  - .args:
      - .actual_access:  read_only
        .address_space:  global
        .offset:         0
        .size:           8
        .value_kind:     global_buffer
      - .offset:         8
        .size:           8
        .value_kind:     by_value
      - .actual_access:  read_only
        .address_space:  global
        .offset:         16
        .size:           8
        .value_kind:     global_buffer
      - .actual_access:  read_only
        .address_space:  global
        .offset:         24
        .size:           8
        .value_kind:     global_buffer
      - .offset:         32
        .size:           8
        .value_kind:     by_value
      - .actual_access:  read_only
        .address_space:  global
        .offset:         40
        .size:           8
        .value_kind:     global_buffer
      - .actual_access:  read_only
        .address_space:  global
        .offset:         48
        .size:           8
        .value_kind:     global_buffer
      - .offset:         56
        .size:           4
        .value_kind:     by_value
      - .actual_access:  read_only
        .address_space:  global
        .offset:         64
        .size:           8
        .value_kind:     global_buffer
      - .actual_access:  read_only
        .address_space:  global
        .offset:         72
        .size:           8
        .value_kind:     global_buffer
      - .address_space:  global
        .offset:         80
        .size:           8
        .value_kind:     global_buffer
    .group_segment_fixed_size: 0
    .kernarg_segment_align: 8
    .kernarg_segment_size: 88
    .language:       OpenCL C
    .language_version:
      - 2
      - 0
    .max_flat_workgroup_size: 104
    .name:           fft_rtc_fwd_len1144_factors_13_11_8_wgs_104_tpt_104_dp_ip_CI_unitstride_sbrr_C2R_dirReg
    .private_segment_fixed_size: 0
    .sgpr_count:     50
    .sgpr_spill_count: 0
    .symbol:         fft_rtc_fwd_len1144_factors_13_11_8_wgs_104_tpt_104_dp_ip_CI_unitstride_sbrr_C2R_dirReg.kd
    .uniform_work_group_size: 1
    .uses_dynamic_stack: false
    .vgpr_count:     255
    .vgpr_spill_count: 0
    .wavefront_size: 64
amdhsa.target:   amdgcn-amd-amdhsa--gfx906
amdhsa.version:
  - 1
  - 2
...

	.end_amdgpu_metadata
